;; amdgpu-corpus repo=ROCm/rocFFT kind=compiled arch=gfx950 opt=O3
	.text
	.amdgcn_target "amdgcn-amd-amdhsa--gfx950"
	.amdhsa_code_object_version 6
	.protected	bluestein_single_back_len510_dim1_sp_op_CI_CI ; -- Begin function bluestein_single_back_len510_dim1_sp_op_CI_CI
	.globl	bluestein_single_back_len510_dim1_sp_op_CI_CI
	.p2align	8
	.type	bluestein_single_back_len510_dim1_sp_op_CI_CI,@function
bluestein_single_back_len510_dim1_sp_op_CI_CI: ; @bluestein_single_back_len510_dim1_sp_op_CI_CI
; %bb.0:
	s_load_dwordx4 s[8:11], s[0:1], 0x28
	v_mul_u32_u24_e32 v1, 0x788, v0
	v_lshrrev_b32_e32 v2, 16, v1
	v_mad_u64_u32 v[200:201], s[2:3], s2, 7, v[2:3]
	v_mov_b32_e32 v77, 0
	v_mov_b32_e32 v201, v77
	s_waitcnt lgkmcnt(0)
	v_cmp_gt_u64_e32 vcc, s[8:9], v[200:201]
	s_and_saveexec_b64 s[2:3], vcc
	s_cbranch_execz .LBB0_23
; %bb.1:
	v_mul_lo_u16_e32 v1, 34, v2
	s_mov_b32 s2, 0x24924925
	v_sub_u16_e32 v76, v0, v1
	v_mul_hi_u32 v0, v200, s2
	v_sub_u32_e32 v1, v200, v0
	v_lshrrev_b32_e32 v1, 1, v1
	v_add_u32_e32 v0, v1, v0
	s_load_dwordx2 s[8:9], s[0:1], 0x0
	s_load_dwordx2 s[12:13], s[0:1], 0x38
	v_lshrrev_b32_e32 v0, 2, v0
	v_mul_lo_u32 v0, v0, 7
	v_sub_u32_e32 v0, v200, v0
	v_mul_u32_u24_e32 v176, 0x1fe, v0
	v_cmp_gt_u16_e32 vcc, 30, v76
	v_lshlrev_b32_e32 v196, 3, v76
	v_lshlrev_b32_e32 v199, 3, v176
	s_and_saveexec_b64 s[2:3], vcc
	s_cbranch_execz .LBB0_3
; %bb.2:
	s_load_dwordx2 s[4:5], s[0:1], 0x18
	v_mov_b32_e32 v0, s10
	v_mov_b32_e32 v1, s11
	;; [unrolled: 1-line block ×3, first 2 shown]
	v_or_b32_e32 v69, 0x1e0, v76
	s_waitcnt lgkmcnt(0)
	s_load_dwordx4 s[4:7], s[4:5], 0x0
	v_lshl_add_u32 v70, v76, 3, v199
	s_waitcnt lgkmcnt(0)
	v_mad_u64_u32 v[2:3], s[10:11], s6, v200, 0
	v_mad_u64_u32 v[4:5], s[10:11], s4, v76, 0
	v_mov_b32_e32 v6, v3
	v_mov_b32_e32 v8, v5
	v_mad_u64_u32 v[6:7], s[6:7], s7, v200, v[6:7]
	v_mov_b32_e32 v3, v6
	v_mad_u64_u32 v[6:7], s[6:7], s5, v76, v[8:9]
	v_mov_b32_e32 v5, v6
	v_lshl_add_u64 v[0:1], v[2:3], 3, v[0:1]
	v_lshl_add_u64 v[2:3], v[4:5], 3, v[0:1]
	global_load_dwordx2 v[4:5], v[2:3], off
	v_mad_u64_u32 v[2:3], s[6:7], s4, v60, v[2:3]
	s_mul_i32 s6, s5, 0xf0
	s_nop 0
	v_add_u32_e32 v3, s6, v3
	v_mad_u64_u32 v[6:7], s[10:11], s4, v60, v[2:3]
	v_add_u32_e32 v7, s6, v7
	v_mad_u64_u32 v[8:9], s[10:11], s4, v60, v[6:7]
	;; [unrolled: 2-line block ×3, first 2 shown]
	v_add_u32_e32 v19, s6, v19
	global_load_dwordx2 v[10:11], v196, s[8:9]
	global_load_dwordx2 v[12:13], v196, s[8:9] offset:240
	global_load_dwordx2 v[14:15], v196, s[8:9] offset:480
	;; [unrolled: 1-line block ×3, first 2 shown]
	global_load_dwordx2 v[20:21], v[2:3], off
	global_load_dwordx2 v[22:23], v[6:7], off
	;; [unrolled: 1-line block ×4, first 2 shown]
	v_mad_u64_u32 v[2:3], s[10:11], s4, v60, v[18:19]
	v_add_u32_e32 v3, s6, v3
	global_load_dwordx2 v[6:7], v[2:3], off
	v_mad_u64_u32 v[2:3], s[10:11], s4, v60, v[2:3]
	v_add_u32_e32 v3, s6, v3
	global_load_dwordx2 v[8:9], v[2:3], off
	v_mad_u64_u32 v[2:3], s[10:11], s4, v60, v[2:3]
	v_add_u32_e32 v3, s6, v3
	global_load_dwordx2 v[18:19], v196, s[8:9] offset:960
	global_load_dwordx2 v[28:29], v[2:3], off
	global_load_dwordx2 v[30:31], v196, s[8:9] offset:1200
	global_load_dwordx2 v[32:33], v196, s[8:9] offset:1440
	global_load_dwordx2 v[34:35], v196, s[8:9] offset:1680
	v_mad_u64_u32 v[2:3], s[10:11], s4, v60, v[2:3]
	v_add_u32_e32 v3, s6, v3
	global_load_dwordx2 v[36:37], v[2:3], off
	v_mad_u64_u32 v[2:3], s[10:11], s4, v60, v[2:3]
	v_add_u32_e32 v3, s6, v3
	global_load_dwordx2 v[38:39], v[2:3], off
	;; [unrolled: 3-line block ×3, first 2 shown]
	global_load_dwordx2 v[42:43], v196, s[8:9] offset:1920
	v_mad_u64_u32 v[2:3], s[10:11], s4, v60, v[2:3]
	v_add_u32_e32 v3, s6, v3
	global_load_dwordx2 v[44:45], v[2:3], off
	global_load_dwordx2 v[46:47], v196, s[8:9] offset:2160
	global_load_dwordx2 v[48:49], v196, s[8:9] offset:2400
	;; [unrolled: 1-line block ×3, first 2 shown]
	v_mad_u64_u32 v[2:3], s[10:11], s4, v60, v[2:3]
	v_add_u32_e32 v3, s6, v3
	global_load_dwordx2 v[52:53], v[2:3], off
	v_mad_u64_u32 v[2:3], s[10:11], s4, v60, v[2:3]
	v_add_u32_e32 v3, s6, v3
	global_load_dwordx2 v[54:55], v[2:3], off
	v_mad_u64_u32 v[2:3], s[10:11], s4, v60, v[2:3]
	v_add_u32_e32 v3, s6, v3
	global_load_dwordx2 v[56:57], v196, s[8:9] offset:2880
	global_load_dwordx2 v[58:59], v[2:3], off
	v_mad_u64_u32 v[2:3], s[10:11], s4, v60, v[2:3]
	v_add_u32_e32 v3, s6, v3
	global_load_dwordx2 v[60:61], v196, s[8:9] offset:3120
	global_load_dwordx2 v[62:63], v[2:3], off
	global_load_dwordx2 v[64:65], v196, s[8:9] offset:3360
	global_load_dwordx2 v[66:67], v196, s[8:9] offset:3600
	v_mad_u64_u32 v[2:3], s[6:7], s4, v69, 0
	v_mov_b32_e32 v68, v3
	v_mad_u64_u32 v[68:69], s[4:5], s5, v69, v[68:69]
	v_mov_b32_e32 v3, v68
	v_lshl_add_u64 v[0:1], v[2:3], 3, v[0:1]
	global_load_dwordx2 v[2:3], v[0:1], off
	global_load_dwordx2 v[68:69], v196, s[8:9] offset:3840
	s_waitcnt vmcnt(32)
	v_mul_f32_e32 v0, v5, v11
	v_mul_f32_e32 v1, v4, v11
	v_fmac_f32_e32 v0, v4, v10
	v_fma_f32 v1, v5, v10, -v1
	ds_write_b64 v70, v[0:1]
	s_waitcnt vmcnt(28)
	v_mul_f32_e32 v0, v21, v13
	v_mul_f32_e32 v1, v20, v13
	s_waitcnt vmcnt(27)
	v_mul_f32_e32 v4, v23, v15
	v_mul_f32_e32 v5, v22, v15
	v_fmac_f32_e32 v0, v20, v12
	v_add_u32_e32 v10, v199, v196
	v_fma_f32 v1, v21, v12, -v1
	v_fmac_f32_e32 v4, v22, v14
	v_fma_f32 v5, v23, v14, -v5
	ds_write2_b64 v10, v[0:1], v[4:5] offset0:30 offset1:60
	s_waitcnt vmcnt(26)
	v_mul_f32_e32 v0, v25, v17
	v_mul_f32_e32 v1, v24, v17
	s_waitcnt vmcnt(22)
	v_mul_f32_e32 v4, v27, v19
	v_mul_f32_e32 v5, v26, v19
	v_fmac_f32_e32 v0, v24, v16
	v_fma_f32 v1, v25, v16, -v1
	v_fmac_f32_e32 v4, v26, v18
	v_fma_f32 v5, v27, v18, -v5
	ds_write2_b64 v10, v[0:1], v[4:5] offset0:90 offset1:120
	s_waitcnt vmcnt(20)
	v_mul_f32_e32 v0, v7, v31
	v_mul_f32_e32 v1, v6, v31
	s_waitcnt vmcnt(19)
	v_mul_f32_e32 v4, v9, v33
	v_mul_f32_e32 v5, v8, v33
	v_fmac_f32_e32 v0, v6, v30
	;; [unrolled: 11-line block ×4, first 2 shown]
	v_fma_f32 v1, v39, v46, -v1
	v_fmac_f32_e32 v4, v40, v48
	v_fma_f32 v5, v41, v48, -v5
	v_add_u32_e32 v6, 0x800, v10
	ds_write2_b64 v6, v[0:1], v[4:5] offset0:14 offset1:44
	s_waitcnt vmcnt(10)
	v_mul_f32_e32 v0, v45, v51
	v_mul_f32_e32 v1, v44, v51
	s_waitcnt vmcnt(7)
	v_mul_f32_e32 v4, v53, v57
	v_mul_f32_e32 v5, v52, v57
	v_fmac_f32_e32 v0, v44, v50
	v_fma_f32 v1, v45, v50, -v1
	v_fmac_f32_e32 v4, v52, v56
	v_fma_f32 v5, v53, v56, -v5
	ds_write2_b64 v6, v[0:1], v[4:5] offset0:74 offset1:104
	s_waitcnt vmcnt(5)
	v_mul_f32_e32 v0, v55, v61
	v_mul_f32_e32 v1, v54, v61
	s_waitcnt vmcnt(3)
	v_mul_f32_e32 v4, v59, v65
	v_mul_f32_e32 v5, v58, v65
	v_fmac_f32_e32 v0, v54, v60
	v_fma_f32 v1, v55, v60, -v1
	v_fmac_f32_e32 v4, v58, v64
	v_fma_f32 v5, v59, v64, -v5
	ds_write2_b64 v6, v[0:1], v[4:5] offset0:134 offset1:164
	s_waitcnt vmcnt(0)
	v_mul_f32_e32 v4, v3, v69
	v_mul_f32_e32 v0, v63, v67
	;; [unrolled: 1-line block ×3, first 2 shown]
	v_fmac_f32_e32 v4, v2, v68
	v_mul_f32_e32 v2, v2, v69
	v_fmac_f32_e32 v0, v62, v66
	v_fma_f32 v1, v63, v66, -v1
	v_fma_f32 v5, v3, v68, -v2
	ds_write2_b64 v6, v[0:1], v[4:5] offset0:194 offset1:224
.LBB0_3:
	s_or_b64 exec, exec, s[2:3]
	v_mov_b32_e32 v0, 0
	v_mov_b32_e32 v1, 0
	s_waitcnt lgkmcnt(0)
	s_barrier
	s_waitcnt lgkmcnt(0)
                                        ; implicit-def: $vgpr10
                                        ; implicit-def: $vgpr16
                                        ; implicit-def: $vgpr14
                                        ; implicit-def: $vgpr28
                                        ; implicit-def: $vgpr26
                                        ; implicit-def: $vgpr38
                                        ; implicit-def: $vgpr32
                                        ; implicit-def: $vgpr60
	s_and_saveexec_b64 s[2:3], vcc
	s_cbranch_execz .LBB0_5
; %bb.4:
	v_lshl_add_u32 v4, v176, 3, v196
	v_add_u32_e32 v5, 0x400, v4
	ds_read2_b64 v[0:3], v4 offset1:30
	ds_read2_b64 v[32:35], v4 offset0:60 offset1:90
	ds_read2_b64 v[24:27], v4 offset0:120 offset1:150
	;; [unrolled: 1-line block ×4, first 2 shown]
	v_add_u32_e32 v5, 0x800, v4
	ds_read2_b64 v[16:19], v5 offset0:44 offset1:74
	ds_read2_b64 v[28:31], v5 offset0:104 offset1:134
	;; [unrolled: 1-line block ×3, first 2 shown]
	ds_read_b64 v[60:61], v4 offset:3840
.LBB0_5:
	s_or_b64 exec, exec, s[2:3]
	s_waitcnt lgkmcnt(0)
	v_pk_add_f32 v[48:49], v[2:3], v[60:61] neg_lo:[0,1] neg_hi:[0,1]
	s_mov_b32 s42, 0xbf65296c
	v_pk_add_f32 v[46:47], v[60:61], v[2:3]
	v_pk_add_f32 v[52:53], v[32:33], v[38:39] neg_lo:[0,1] neg_hi:[0,1]
	s_mov_b32 s4, 0x3ee437d1
	v_pk_mul_f32 v[4:5], v[48:49], s[42:43] op_sel_hi:[1,0]
	s_mov_b32 s18, 0xbf4c4adb
	v_pk_add_f32 v[50:51], v[38:39], v[32:33]
	v_pk_add_f32 v[44:45], v[34:35], v[36:37] neg_lo:[0,1] neg_hi:[0,1]
	s_mov_b32 s14, 0xbf1a4643
	v_pk_mul_f32 v[6:7], v[52:53], s[18:19] op_sel_hi:[1,0]
	s_mov_b32 s2, 0x3e3c28d5
	v_pk_fma_f32 v[96:97], v[46:47], s[4:5], v[4:5] op_sel:[0,0,1] op_sel_hi:[1,0,0]
	v_pk_fma_f32 v[80:81], v[46:47], s[4:5], v[4:5] op_sel:[0,0,1] op_sel_hi:[1,0,0] neg_lo:[0,0,1] neg_hi:[0,0,1]
	v_pk_add_f32 v[42:43], v[36:37], v[34:35]
	v_pk_add_f32 v[40:41], v[24:25], v[30:31] neg_lo:[0,1] neg_hi:[0,1]
	s_mov_b32 s20, 0xbf7ba420
	v_pk_mul_f32 v[22:23], v[44:45], s[2:3] op_sel_hi:[1,0]
	s_mov_b32 s36, 0x3f763a35
	v_mov_b32_e32 v4, v96
	v_mov_b32_e32 v5, v81
	v_pk_fma_f32 v[98:99], v[50:51], s[14:15], v[6:7] op_sel:[0,0,1] op_sel_hi:[1,0,0]
	v_pk_fma_f32 v[82:83], v[50:51], s[14:15], v[6:7] op_sel:[0,0,1] op_sel_hi:[1,0,0] neg_lo:[0,0,1] neg_hi:[0,0,1]
	v_pk_add_f32 v[20:21], v[30:31], v[24:25]
	v_pk_fma_f32 v[92:93], v[42:43], s[20:21], v[22:23] op_sel:[0,0,1] op_sel_hi:[1,0,0]
	v_pk_fma_f32 v[72:73], v[42:43], s[20:21], v[22:23] op_sel:[0,0,1] op_sel_hi:[1,0,0] neg_lo:[0,0,1] neg_hi:[0,0,1]
	s_mov_b32 s6, 0xbe8c1d8e
	v_pk_mul_f32 v[22:23], v[40:41], s[36:37] op_sel_hi:[1,0]
	v_mov_b32_e32 v6, v98
	v_mov_b32_e32 v7, v83
	v_pk_add_f32 v[4:5], v[4:5], v[0:1]
	v_pk_fma_f32 v[94:95], v[20:21], s[6:7], v[22:23] op_sel:[0,0,1] op_sel_hi:[1,0,0]
	v_pk_fma_f32 v[74:75], v[20:21], s[6:7], v[22:23] op_sel:[0,0,1] op_sel_hi:[1,0,0] neg_lo:[0,0,1] neg_hi:[0,0,1]
	v_pk_add_f32 v[4:5], v[6:7], v[4:5]
	v_mov_b32_e32 v6, v92
	v_mov_b32_e32 v7, v73
	v_pk_add_f32 v[58:59], v[26:27], v[28:29] neg_lo:[0,1] neg_hi:[0,1]
	v_pk_add_f32 v[4:5], v[6:7], v[4:5]
	v_mov_b32_e32 v6, v94
	v_mov_b32_e32 v7, v75
	s_mov_b32 s28, 0x3f2c7751
	v_pk_add_f32 v[56:57], v[28:29], v[26:27]
	s_mov_b32 s22, 0x3f3d2fb0
	v_pk_add_f32 v[4:5], v[6:7], v[4:5]
	v_pk_mul_f32 v[6:7], v[58:59], s[28:29] op_sel_hi:[1,0]
	s_mov_b32 s26, 0xbeb8f4ab
	v_pk_fma_f32 v[84:85], v[56:57], s[22:23], v[6:7] op_sel:[0,0,1] op_sel_hi:[1,0,0]
	v_pk_fma_f32 v[86:87], v[56:57], s[22:23], v[6:7] op_sel:[0,0,1] op_sel_hi:[1,0,0] neg_lo:[0,0,1] neg_hi:[0,0,1]
	v_pk_add_f32 v[66:67], v[12:13], v[18:19] neg_lo:[0,1] neg_hi:[0,1]
	v_mov_b32_e32 v6, v84
	v_mov_b32_e32 v7, v87
	s_mov_b32 s16, 0x3f6eb680
	v_pk_add_f32 v[54:55], v[18:19], v[12:13]
	v_pk_add_f32 v[4:5], v[6:7], v[4:5]
	v_pk_mul_f32 v[6:7], v[66:67], s[26:27] op_sel:[1,0] op_sel_hi:[0,0]
	v_pk_fma_f32 v[88:89], v[54:55], s[16:17], v[6:7] op_sel_hi:[1,0,1]
	v_pk_fma_f32 v[90:91], v[54:55], s[16:17], v[6:7] op_sel_hi:[1,0,1] neg_lo:[0,0,1] neg_hi:[0,0,1]
	s_mov_b32 s30, 0xbf2c7751
	v_mov_b32_e32 v6, v88
	v_mov_b32_e32 v7, v91
	s_mov_b32 s34, 0xbf7ee86f
	v_pk_add_f32 v[4:5], v[6:7], v[4:5]
	v_pk_mul_f32 v[6:7], v[48:49], s[30:31] op_sel_hi:[1,0]
	s_mov_b32 s24, 0x3dbcf732
	v_pk_fma_f32 v[100:101], v[46:47], s[22:23], v[6:7] op_sel:[0,0,1] op_sel_hi:[1,0,0]
	v_pk_fma_f32 v[102:103], v[46:47], s[22:23], v[6:7] op_sel:[0,0,1] op_sel_hi:[1,0,0] neg_lo:[0,0,1] neg_hi:[0,0,1]
	v_pk_mul_f32 v[22:23], v[52:53], s[34:35] op_sel_hi:[1,0]
	v_mov_b32_e32 v6, v100
	v_mov_b32_e32 v7, v103
	v_pk_fma_f32 v[104:105], v[50:51], s[24:25], v[22:23] op_sel:[0,0,1] op_sel_hi:[1,0,0]
	v_pk_fma_f32 v[106:107], v[50:51], s[24:25], v[22:23] op_sel:[0,0,1] op_sel_hi:[1,0,0] neg_lo:[0,0,1] neg_hi:[0,0,1]
	v_mov_b32_e32 v22, v104
	v_mov_b32_e32 v23, v107
	v_pk_add_f32 v[6:7], v[6:7], v[0:1]
	s_mov_b32 s44, 0xbe3c28d5
	v_pk_add_f32 v[6:7], v[22:23], v[6:7]
	v_pk_mul_f32 v[22:23], v[44:45], s[18:19] op_sel_hi:[1,0]
	s_mov_b32 s52, 0x3f06c442
	v_pk_fma_f32 v[108:109], v[42:43], s[14:15], v[22:23] op_sel:[0,0,1] op_sel_hi:[1,0,0]
	v_pk_fma_f32 v[110:111], v[42:43], s[14:15], v[22:23] op_sel:[0,0,1] op_sel_hi:[1,0,0] neg_lo:[0,0,1] neg_hi:[0,0,1]
	v_mov_b32_e32 v22, v108
	v_mov_b32_e32 v23, v111
	v_pk_add_f32 v[6:7], v[22:23], v[6:7]
	v_pk_mul_f32 v[22:23], v[40:41], s[44:45] op_sel_hi:[1,0]
	s_mov_b32 s40, 0xbf59a7d5
	v_pk_fma_f32 v[112:113], v[20:21], s[20:21], v[22:23] op_sel:[0,0,1] op_sel_hi:[1,0,0]
	v_pk_fma_f32 v[114:115], v[20:21], s[20:21], v[22:23] op_sel:[0,0,1] op_sel_hi:[1,0,0] neg_lo:[0,0,1] neg_hi:[0,0,1]
	v_mov_b32_e32 v22, v112
	v_mov_b32_e32 v23, v115
	;; [unrolled: 7-line block ×3, first 2 shown]
	v_pk_add_f32 v[6:7], v[22:23], v[6:7]
	v_pk_mul_f32 v[22:23], v[66:67], s[36:37] op_sel:[1,0] op_sel_hi:[0,0]
	v_pk_fma_f32 v[124:125], v[54:55], s[6:7], v[22:23] op_sel_hi:[1,0,1]
	v_pk_fma_f32 v[126:127], v[54:55], s[6:7], v[22:23] op_sel_hi:[1,0,1] neg_lo:[0,0,1] neg_hi:[0,0,1]
	v_mov_b32_e32 v22, v124
	v_mov_b32_e32 v23, v127
	v_pk_add_f32 v[140:141], v[14:15], v[16:17] neg_lo:[0,1] neg_hi:[0,1]
	v_pk_add_f32 v[6:7], v[22:23], v[6:7]
	v_pk_add_f32 v[62:63], v[16:17], v[14:15]
	v_pk_mul_f32 v[22:23], v[140:141], s[38:39] op_sel:[1,0] op_sel_hi:[0,0]
	v_pk_fma_f32 v[128:129], v[62:63], s[4:5], v[22:23] op_sel_hi:[1,0,1]
	v_pk_fma_f32 v[130:131], v[62:63], s[4:5], v[22:23] op_sel_hi:[1,0,1] neg_lo:[0,0,1] neg_hi:[0,0,1]
	v_mov_b32_e32 v22, v128
	v_mov_b32_e32 v23, v131
	v_pk_add_f32 v[6:7], v[22:23], v[6:7]
	v_pk_mul_f32 v[22:23], v[140:141], s[34:35] op_sel:[1,0] op_sel_hi:[0,0]
	v_pk_fma_f32 v[116:117], v[62:63], s[24:25], v[22:23] op_sel_hi:[1,0,1]
	v_pk_fma_f32 v[118:119], v[62:63], s[24:25], v[22:23] op_sel_hi:[1,0,1] neg_lo:[0,0,1] neg_hi:[0,0,1]
	v_mov_b32_e32 v22, v116
	v_mov_b32_e32 v23, v119
	s_mov_b32 s48, 0x3eb8f4ab
	v_pk_add_f32 v[154:155], v[8:9], v[10:11] neg_lo:[0,1] neg_hi:[0,1]
	v_pk_add_f32 v[4:5], v[22:23], v[4:5]
	v_pk_add_f32 v[64:65], v[10:11], v[8:9]
	v_pk_mul_f32 v[22:23], v[154:155], s[48:49] op_sel:[1,0] op_sel_hi:[0,0]
	v_pk_fma_f32 v[136:137], v[64:65], s[16:17], v[22:23] op_sel_hi:[1,0,1]
	v_pk_fma_f32 v[138:139], v[64:65], s[16:17], v[22:23] op_sel_hi:[1,0,1] neg_lo:[0,0,1] neg_hi:[0,0,1]
	s_mov_b32 s46, 0xbf06c442
	v_mov_b32_e32 v22, v136
	v_mov_b32_e32 v23, v139
	v_pk_add_f32 v[6:7], v[22:23], v[6:7]
	v_pk_mul_f32 v[22:23], v[154:155], s[46:47] op_sel:[1,0] op_sel_hi:[0,0]
	v_pk_fma_f32 v[132:133], v[64:65], s[40:41], v[22:23] op_sel_hi:[1,0,1]
	v_pk_fma_f32 v[134:135], v[64:65], s[40:41], v[22:23] op_sel_hi:[1,0,1] neg_lo:[0,0,1] neg_hi:[0,0,1]
	v_mov_b32_e32 v22, v132
	v_mov_b32_e32 v23, v135
	v_pk_add_f32 v[4:5], v[22:23], v[4:5]
	v_pk_mul_f32 v[22:23], v[48:49], s[26:27] op_sel_hi:[1,0]
	v_pk_mul_f32 v[68:69], v[52:53], s[30:31] op_sel_hi:[1,0]
	v_pk_fma_f32 v[166:167], v[46:47], s[16:17], v[22:23] op_sel:[0,0,1] op_sel_hi:[1,0,0]
	v_pk_fma_f32 v[142:143], v[46:47], s[16:17], v[22:23] op_sel:[0,0,1] op_sel_hi:[1,0,0] neg_lo:[0,0,1] neg_hi:[0,0,1]
	v_mov_b32_e32 v22, v166
	v_mov_b32_e32 v23, v143
	v_pk_fma_f32 v[144:145], v[50:51], s[22:23], v[68:69] op_sel:[0,0,1] op_sel_hi:[1,0,0]
	v_pk_fma_f32 v[146:147], v[50:51], s[22:23], v[68:69] op_sel:[0,0,1] op_sel_hi:[1,0,0] neg_lo:[0,0,1] neg_hi:[0,0,1]
	v_pk_add_f32 v[22:23], v[22:23], v[0:1]
	v_mov_b32_e32 v68, v144
	v_mov_b32_e32 v69, v147
	v_pk_add_f32 v[22:23], v[68:69], v[22:23]
	v_pk_mul_f32 v[68:69], v[44:45], s[42:43] op_sel_hi:[1,0]
	s_mov_b32 s50, 0xbf763a35
	v_pk_fma_f32 v[148:149], v[42:43], s[4:5], v[68:69] op_sel:[0,0,1] op_sel_hi:[1,0,0]
	v_pk_fma_f32 v[150:151], v[42:43], s[4:5], v[68:69] op_sel:[0,0,1] op_sel_hi:[1,0,0] neg_lo:[0,0,1] neg_hi:[0,0,1]
	v_mov_b32_e32 v68, v148
	v_mov_b32_e32 v69, v151
	v_pk_add_f32 v[22:23], v[68:69], v[22:23]
	v_pk_mul_f32 v[68:69], v[40:41], s[34:35] op_sel_hi:[1,0]
	s_load_dwordx2 s[2:3], s[0:1], 0x20
	s_load_dwordx2 s[10:11], s[0:1], 0x8
	v_pk_fma_f32 v[152:153], v[20:21], s[24:25], v[68:69] op_sel:[0,0,1] op_sel_hi:[1,0,0]
	v_pk_fma_f32 v[156:157], v[20:21], s[24:25], v[68:69] op_sel:[0,0,1] op_sel_hi:[1,0,0] neg_lo:[0,0,1] neg_hi:[0,0,1]
	v_mov_b32_e32 v68, v152
	v_mov_b32_e32 v69, v157
	v_pk_add_f32 v[22:23], v[68:69], v[22:23]
	v_pk_mul_f32 v[68:69], v[58:59], s[50:51] op_sel_hi:[1,0]
	v_mul_lo_u16_e32 v198, 17, v76
	v_pk_fma_f32 v[158:159], v[56:57], s[6:7], v[68:69] op_sel:[0,0,1] op_sel_hi:[1,0,0]
	v_pk_fma_f32 v[160:161], v[56:57], s[6:7], v[68:69] op_sel:[0,0,1] op_sel_hi:[1,0,0] neg_lo:[0,0,1] neg_hi:[0,0,1]
	v_mov_b32_e32 v68, v158
	v_mov_b32_e32 v69, v161
	v_pk_add_f32 v[22:23], v[68:69], v[22:23]
	v_pk_mul_f32 v[68:69], v[66:67], s[18:19] op_sel:[1,0] op_sel_hi:[0,0]
	v_pk_fma_f32 v[162:163], v[54:55], s[14:15], v[68:69] op_sel_hi:[1,0,1]
	v_pk_fma_f32 v[164:165], v[54:55], s[14:15], v[68:69] op_sel_hi:[1,0,1] neg_lo:[0,0,1] neg_hi:[0,0,1]
	v_mov_b32_e32 v68, v162
	v_mov_b32_e32 v69, v165
	v_pk_add_f32 v[22:23], v[68:69], v[22:23]
	v_pk_mul_f32 v[68:69], v[140:141], s[46:47] op_sel:[1,0] op_sel_hi:[0,0]
	v_pk_fma_f32 v[168:169], v[62:63], s[40:41], v[68:69] op_sel_hi:[1,0,1]
	v_pk_fma_f32 v[170:171], v[62:63], s[40:41], v[68:69] op_sel_hi:[1,0,1] neg_lo:[0,0,1] neg_hi:[0,0,1]
	;; [unrolled: 6-line block ×3, first 2 shown]
	v_mov_b32_e32 v68, v172
	v_mov_b32_e32 v69, v175
	v_pk_add_f32 v[22:23], v[68:69], v[22:23]
	s_waitcnt lgkmcnt(0)
	s_barrier
	s_and_saveexec_b64 s[0:1], vcc
	s_cbranch_execz .LBB0_7
; %bb.6:
	v_pk_add_f32 v[2:3], v[2:3], v[0:1]
	v_mov_b32_e32 v143, v167
	v_pk_add_f32 v[2:3], v[32:33], v[2:3]
	v_mov_b32_e32 v147, v145
	;; [unrolled: 2-line block ×7, first 2 shown]
	v_pk_add_f32 v[2:3], v[8:9], v[2:3]
	v_pk_add_f32 v[8:9], v[142:143], v[0:1]
	v_pk_add_f32 v[2:3], v[10:11], v[2:3]
	v_pk_add_f32 v[8:9], v[146:147], v[8:9]
	v_pk_add_f32 v[2:3], v[16:17], v[2:3]
	v_pk_add_f32 v[8:9], v[150:151], v[8:9]
	v_pk_add_f32 v[2:3], v[18:19], v[2:3]
	v_pk_add_f32 v[8:9], v[156:157], v[8:9]
	v_pk_add_f32 v[2:3], v[28:29], v[2:3]
	v_pk_add_f32 v[8:9], v[160:161], v[8:9]
	v_pk_add_f32 v[2:3], v[30:31], v[2:3]
	v_pk_add_f32 v[8:9], v[164:165], v[8:9]
	v_pk_add_f32 v[2:3], v[36:37], v[2:3]
	v_pk_add_f32 v[8:9], v[170:171], v[8:9]
	v_pk_add_f32 v[2:3], v[38:39], v[2:3]
	v_mov_b32_e32 v175, v173
	v_mov_b32_e32 v81, v97
	v_add_lshl_u32 v108, v176, v198, 3
	v_pk_add_f32 v[2:3], v[60:61], v[2:3]
	v_pk_add_f32 v[8:9], v[174:175], v[8:9]
	v_mov_b32_e32 v103, v101
	v_mov_b32_e32 v83, v99
	ds_write2_b64 v108, v[2:3], v[8:9] offset1:1
	v_pk_add_f32 v[2:3], v[102:103], v[0:1]
	v_mov_b32_e32 v107, v105
	v_pk_add_f32 v[8:9], v[80:81], v[0:1]
	v_mov_b32_e32 v73, v93
	;; [unrolled: 2-line block ×5, first 2 shown]
	v_pk_add_f32 v[8:9], v[72:73], v[8:9]
	v_pk_add_f32 v[2:3], v[114:115], v[2:3]
	v_mov_b32_e32 v123, v121
	v_pk_add_f32 v[8:9], v[74:75], v[8:9]
	v_mov_b32_e32 v87, v85
	;; [unrolled: 2-line block ×8, first 2 shown]
	v_pk_add_f32 v[2:3], v[138:139], v[2:3]
	v_pk_add_f32 v[8:9], v[134:135], v[8:9]
	ds_write2_b64 v108, v[2:3], v[8:9] offset0:2 offset1:3
	v_pk_mul_f32 v[8:9], v[48:49], s[34:35] op_sel_hi:[1,0]
	v_pk_mul_f32 v[12:13], v[52:53], s[44:45] op_sel_hi:[1,0]
	v_pk_fma_f32 v[2:3], v[46:47], s[24:25], v[8:9] op_sel:[0,0,1] op_sel_hi:[1,0,0] neg_lo:[0,0,1] neg_hi:[0,0,1]
	v_pk_fma_f32 v[8:9], v[46:47], s[24:25], v[8:9] op_sel:[0,0,1] op_sel_hi:[1,0,0]
	v_mov_b32_e32 v10, v2
	v_mov_b32_e32 v11, v9
	v_pk_add_f32 v[14:15], v[10:11], v[0:1]
	v_pk_fma_f32 v[10:11], v[50:51], s[20:21], v[12:13] op_sel:[0,0,1] op_sel_hi:[1,0,0] neg_lo:[0,0,1] neg_hi:[0,0,1]
	v_pk_fma_f32 v[12:13], v[50:51], s[20:21], v[12:13] op_sel:[0,0,1] op_sel_hi:[1,0,0]
	v_mov_b32_e32 v16, v10
	v_mov_b32_e32 v17, v13
	v_pk_add_f32 v[18:19], v[16:17], v[14:15]
	v_pk_mul_f32 v[16:17], v[44:45], s[36:37] op_sel_hi:[1,0]
	v_mov_b32_e32 v70, v67
	v_pk_fma_f32 v[14:15], v[42:43], s[6:7], v[16:17] op_sel:[0,0,1] op_sel_hi:[1,0,0] neg_lo:[0,0,1] neg_hi:[0,0,1]
	v_pk_fma_f32 v[16:17], v[42:43], s[6:7], v[16:17] op_sel:[0,0,1] op_sel_hi:[1,0,0]
	v_mov_b32_e32 v24, v14
	v_mov_b32_e32 v25, v17
	v_pk_add_f32 v[26:27], v[24:25], v[18:19]
	v_pk_mul_f32 v[24:25], v[40:41], s[48:49] op_sel_hi:[1,0]
	v_mov_b32_e32 v71, v66
	;; [unrolled: 7-line block ×4, first 2 shown]
	v_pk_fma_f32 v[30:31], v[54:55], s[40:41], v[32:33] op_sel_hi:[1,0,1] neg_lo:[0,0,1] neg_hi:[0,0,1]
	v_pk_fma_f32 v[32:33], v[54:55], s[40:41], v[32:33] op_sel_hi:[1,0,1]
	v_mov_b32_e32 v36, v30
	v_mov_b32_e32 v37, v33
	s_mov_b32 s54, 0x3f4c4adb
	v_pk_add_f32 v[38:39], v[36:37], v[34:35]
	v_pk_mul_f32 v[36:37], v[68:69], s[54:55] op_sel_hi:[1,0]
	v_mov_b32_e32 v66, v155
	v_pk_fma_f32 v[34:35], v[62:63], s[14:15], v[36:37] op_sel_hi:[1,0,1] neg_lo:[0,0,1] neg_hi:[0,0,1]
	v_pk_fma_f32 v[36:37], v[62:63], s[14:15], v[36:37] op_sel_hi:[1,0,1]
	v_mov_b32_e32 v67, v154
	v_mov_b32_e32 v60, v34
	;; [unrolled: 1-line block ×3, first 2 shown]
	v_pk_add_f32 v[72:73], v[60:61], v[38:39]
	v_pk_mul_f32 v[60:61], v[66:67], s[28:29] op_sel_hi:[1,0]
	v_pk_mul_f32 v[82:83], v[52:53], s[52:53] op_sel_hi:[1,0]
	v_pk_fma_f32 v[38:39], v[64:65], s[22:23], v[60:61] op_sel_hi:[1,0,1] neg_lo:[0,0,1] neg_hi:[0,0,1]
	v_pk_fma_f32 v[60:61], v[64:65], s[22:23], v[60:61] op_sel_hi:[1,0,1]
	v_mov_b32_e32 v74, v38
	v_mov_b32_e32 v75, v61
	v_pk_add_f32 v[110:111], v[74:75], v[72:73]
	v_pk_mul_f32 v[74:75], v[48:49], s[50:51] op_sel_hi:[1,0]
	v_pk_mul_f32 v[86:87], v[44:45], s[28:29] op_sel_hi:[1,0]
	v_pk_fma_f32 v[72:73], v[46:47], s[6:7], v[74:75] op_sel:[0,0,1] op_sel_hi:[1,0,0] neg_lo:[0,0,1] neg_hi:[0,0,1]
	v_pk_fma_f32 v[74:75], v[46:47], s[6:7], v[74:75] op_sel:[0,0,1] op_sel_hi:[1,0,0]
	v_mov_b32_e32 v80, v72
	v_mov_b32_e32 v81, v75
	v_pk_add_f32 v[84:85], v[80:81], v[0:1]
	v_pk_fma_f32 v[80:81], v[50:51], s[40:41], v[82:83] op_sel:[0,0,1] op_sel_hi:[1,0,0] neg_lo:[0,0,1] neg_hi:[0,0,1]
	v_pk_fma_f32 v[82:83], v[50:51], s[40:41], v[82:83] op_sel:[0,0,1] op_sel_hi:[1,0,0]
	v_mov_b32_e32 v88, v80
	v_mov_b32_e32 v89, v83
	v_pk_add_f32 v[88:89], v[88:89], v[84:85]
	v_pk_fma_f32 v[84:85], v[42:43], s[22:23], v[86:87] op_sel:[0,0,1] op_sel_hi:[1,0,0] neg_lo:[0,0,1] neg_hi:[0,0,1]
	v_pk_fma_f32 v[86:87], v[42:43], s[22:23], v[86:87] op_sel:[0,0,1] op_sel_hi:[1,0,0]
	v_pk_mul_f32 v[90:91], v[40:41], s[42:43] op_sel_hi:[1,0]
	v_mov_b32_e32 v92, v84
	v_mov_b32_e32 v93, v87
	v_pk_add_f32 v[92:93], v[92:93], v[88:89]
	v_pk_fma_f32 v[88:89], v[20:21], s[4:5], v[90:91] op_sel:[0,0,1] op_sel_hi:[1,0,0] neg_lo:[0,0,1] neg_hi:[0,0,1]
	v_pk_fma_f32 v[90:91], v[20:21], s[4:5], v[90:91] op_sel:[0,0,1] op_sel_hi:[1,0,0]
	v_pk_mul_f32 v[94:95], v[58:59], s[44:45] op_sel_hi:[1,0]
	v_mov_b32_e32 v96, v88
	v_mov_b32_e32 v97, v91
	s_mov_b32 s42, 0x3f7ee86f
	v_pk_add_f32 v[96:97], v[96:97], v[92:93]
	v_pk_fma_f32 v[92:93], v[56:57], s[20:21], v[94:95] op_sel:[0,0,1] op_sel_hi:[1,0,0] neg_lo:[0,0,1] neg_hi:[0,0,1]
	v_pk_fma_f32 v[94:95], v[56:57], s[20:21], v[94:95] op_sel:[0,0,1] op_sel_hi:[1,0,0]
	v_pk_mul_f32 v[98:99], v[70:71], s[42:43] op_sel_hi:[1,0]
	v_mov_b32_e32 v100, v92
	v_mov_b32_e32 v101, v95
	v_pk_add_f32 v[100:101], v[100:101], v[96:97]
	v_pk_fma_f32 v[96:97], v[54:55], s[24:25], v[98:99] op_sel_hi:[1,0,1] neg_lo:[0,0,1] neg_hi:[0,0,1]
	v_pk_fma_f32 v[98:99], v[54:55], s[24:25], v[98:99] op_sel_hi:[1,0,1]
	v_pk_mul_f32 v[102:103], v[68:69], s[26:27] op_sel_hi:[1,0]
	v_mov_b32_e32 v104, v96
	v_mov_b32_e32 v105, v99
	v_pk_add_f32 v[104:105], v[104:105], v[100:101]
	v_pk_fma_f32 v[100:101], v[62:63], s[16:17], v[102:103] op_sel_hi:[1,0,1] neg_lo:[0,0,1] neg_hi:[0,0,1]
	v_pk_fma_f32 v[102:103], v[62:63], s[16:17], v[102:103] op_sel_hi:[1,0,1]
	;; [unrolled: 6-line block ×3, first 2 shown]
	v_mov_b32_e32 v114, v104
	v_mov_b32_e32 v115, v107
	v_pk_add_f32 v[112:113], v[114:115], v[112:113]
	ds_write2_b64 v108, v[110:111], v[112:113] offset0:4 offset1:5
	v_pk_mul_f32 v[110:111], v[48:49], s[18:19] op_sel_hi:[1,0]
	v_pk_mul_f32 v[116:117], v[52:53], s[36:37] op_sel_hi:[1,0]
	v_pk_fma_f32 v[112:113], v[46:47], s[14:15], v[110:111] op_sel:[0,0,1] op_sel_hi:[1,0,0] neg_lo:[0,0,1] neg_hi:[0,0,1]
	v_pk_fma_f32 v[110:111], v[46:47], s[14:15], v[110:111] op_sel:[0,0,1] op_sel_hi:[1,0,0]
	v_mov_b32_e32 v114, v112
	v_mov_b32_e32 v115, v111
	v_pk_fma_f32 v[118:119], v[50:51], s[6:7], v[116:117] op_sel:[0,0,1] op_sel_hi:[1,0,0] neg_lo:[0,0,1] neg_hi:[0,0,1]
	v_pk_fma_f32 v[116:117], v[50:51], s[6:7], v[116:117] op_sel:[0,0,1] op_sel_hi:[1,0,0]
	v_pk_add_f32 v[114:115], v[114:115], v[0:1]
	v_mov_b32_e32 v120, v118
	v_mov_b32_e32 v121, v117
	v_pk_add_f32 v[114:115], v[120:121], v[114:115]
	v_pk_mul_f32 v[120:121], v[44:45], s[26:27] op_sel_hi:[1,0]
	v_pk_mul_f32 v[146:147], v[52:53], s[38:39] op_sel_hi:[1,0]
	v_pk_fma_f32 v[122:123], v[42:43], s[16:17], v[120:121] op_sel:[0,0,1] op_sel_hi:[1,0,0] neg_lo:[0,0,1] neg_hi:[0,0,1]
	v_pk_fma_f32 v[120:121], v[42:43], s[16:17], v[120:121] op_sel:[0,0,1] op_sel_hi:[1,0,0]
	v_mov_b32_e32 v124, v122
	v_mov_b32_e32 v125, v121
	v_pk_add_f32 v[114:115], v[124:125], v[114:115]
	v_pk_mul_f32 v[124:125], v[40:41], s[46:47] op_sel_hi:[1,0]
	v_pk_fma_f32 v[156:157], v[50:51], s[4:5], v[146:147] op_sel:[0,0,1] op_sel_hi:[1,0,0] neg_lo:[0,0,1] neg_hi:[0,0,1]
	v_pk_fma_f32 v[126:127], v[20:21], s[40:41], v[124:125] op_sel:[0,0,1] op_sel_hi:[1,0,0] neg_lo:[0,0,1] neg_hi:[0,0,1]
	v_pk_fma_f32 v[124:125], v[20:21], s[40:41], v[124:125] op_sel:[0,0,1] op_sel_hi:[1,0,0]
	v_mov_b32_e32 v128, v126
	v_mov_b32_e32 v129, v125
	v_pk_add_f32 v[114:115], v[128:129], v[114:115]
	v_pk_mul_f32 v[128:129], v[58:59], s[42:43] op_sel_hi:[1,0]
	v_pk_fma_f32 v[146:147], v[50:51], s[4:5], v[146:147] op_sel:[0,0,1] op_sel_hi:[1,0,0]
	v_pk_fma_f32 v[130:131], v[56:57], s[24:25], v[128:129] op_sel:[0,0,1] op_sel_hi:[1,0,0] neg_lo:[0,0,1] neg_hi:[0,0,1]
	v_pk_fma_f32 v[128:129], v[56:57], s[24:25], v[128:129] op_sel:[0,0,1] op_sel_hi:[1,0,0]
	v_mov_b32_e32 v132, v130
	v_mov_b32_e32 v133, v129
	v_pk_add_f32 v[114:115], v[132:133], v[114:115]
	v_pk_mul_f32 v[132:133], v[70:71], s[30:31] op_sel_hi:[1,0]
	v_pk_mul_f32 v[148:149], v[44:45], s[34:35] op_sel_hi:[1,0]
	v_pk_fma_f32 v[134:135], v[54:55], s[22:23], v[132:133] op_sel_hi:[1,0,1] neg_lo:[0,0,1] neg_hi:[0,0,1]
	v_pk_fma_f32 v[132:133], v[54:55], s[22:23], v[132:133] op_sel_hi:[1,0,1]
	v_mov_b32_e32 v136, v134
	v_mov_b32_e32 v137, v133
	v_pk_add_f32 v[114:115], v[136:137], v[114:115]
	v_pk_mul_f32 v[136:137], v[68:69], s[44:45] op_sel_hi:[1,0]
	v_mov_b32_e32 v158, v156
	v_pk_fma_f32 v[138:139], v[62:63], s[20:21], v[136:137] op_sel_hi:[1,0,1] neg_lo:[0,0,1] neg_hi:[0,0,1]
	v_pk_fma_f32 v[136:137], v[62:63], s[20:21], v[136:137] op_sel_hi:[1,0,1]
	v_mov_b32_e32 v140, v138
	v_mov_b32_e32 v141, v137
	v_pk_add_f32 v[114:115], v[140:141], v[114:115]
	v_pk_mul_f32 v[140:141], v[66:67], s[38:39] op_sel_hi:[1,0]
	v_mov_b32_e32 v159, v147
	v_pk_fma_f32 v[142:143], v[64:65], s[4:5], v[140:141] op_sel_hi:[1,0,1] neg_lo:[0,0,1] neg_hi:[0,0,1]
	v_pk_fma_f32 v[140:141], v[64:65], s[4:5], v[140:141] op_sel_hi:[1,0,1]
	v_mov_b32_e32 v144, v142
	v_mov_b32_e32 v145, v141
	v_pk_add_f32 v[114:115], v[144:145], v[114:115]
	v_pk_mul_f32 v[144:145], v[48:49], s[46:47] op_sel_hi:[1,0]
	v_pk_mul_f32 v[150:151], v[40:41], s[54:55] op_sel_hi:[1,0]
	v_pk_fma_f32 v[152:153], v[46:47], s[40:41], v[144:145] op_sel:[0,0,1] op_sel_hi:[1,0,0] neg_lo:[0,0,1] neg_hi:[0,0,1]
	v_pk_fma_f32 v[144:145], v[46:47], s[40:41], v[144:145] op_sel:[0,0,1] op_sel_hi:[1,0,0]
	v_mov_b32_e32 v154, v152
	v_mov_b32_e32 v155, v145
	v_pk_add_f32 v[154:155], v[154:155], v[0:1]
	v_pk_mul_f32 v[48:49], v[48:49], s[44:45] op_sel_hi:[1,0]
	v_pk_add_f32 v[154:155], v[158:159], v[154:155]
	v_pk_fma_f32 v[158:159], v[42:43], s[24:25], v[148:149] op_sel:[0,0,1] op_sel_hi:[1,0,0] neg_lo:[0,0,1] neg_hi:[0,0,1]
	v_pk_fma_f32 v[148:149], v[42:43], s[24:25], v[148:149] op_sel:[0,0,1] op_sel_hi:[1,0,0]
	v_mov_b32_e32 v160, v158
	v_mov_b32_e32 v161, v149
	v_pk_add_f32 v[154:155], v[160:161], v[154:155]
	v_pk_fma_f32 v[160:161], v[20:21], s[14:15], v[150:151] op_sel:[0,0,1] op_sel_hi:[1,0,0] neg_lo:[0,0,1] neg_hi:[0,0,1]
	v_pk_fma_f32 v[150:151], v[20:21], s[14:15], v[150:151] op_sel:[0,0,1] op_sel_hi:[1,0,0]
	v_mov_b32_e32 v162, v160
	v_mov_b32_e32 v163, v151
	v_pk_add_f32 v[154:155], v[162:163], v[154:155]
	v_pk_mul_f32 v[162:163], v[58:59], s[26:27] op_sel_hi:[1,0]
	v_pk_mul_f32 v[44:45], v[44:45], s[46:47] op_sel_hi:[1,0]
	v_pk_fma_f32 v[164:165], v[56:57], s[16:17], v[162:163] op_sel:[0,0,1] op_sel_hi:[1,0,0] neg_lo:[0,0,1] neg_hi:[0,0,1]
	v_pk_fma_f32 v[162:163], v[56:57], s[16:17], v[162:163] op_sel:[0,0,1] op_sel_hi:[1,0,0]
	v_mov_b32_e32 v166, v164
	v_mov_b32_e32 v167, v163
	v_pk_add_f32 v[154:155], v[166:167], v[154:155]
	v_pk_mul_f32 v[166:167], v[70:71], s[44:45] op_sel_hi:[1,0]
	v_pk_mul_f32 v[40:41], v[40:41], s[28:29] op_sel_hi:[1,0]
	v_pk_fma_f32 v[168:169], v[54:55], s[20:21], v[166:167] op_sel_hi:[1,0,1] neg_lo:[0,0,1] neg_hi:[0,0,1]
	v_pk_fma_f32 v[166:167], v[54:55], s[20:21], v[166:167] op_sel_hi:[1,0,1]
	v_mov_b32_e32 v170, v168
	v_mov_b32_e32 v171, v167
	v_pk_add_f32 v[154:155], v[170:171], v[154:155]
	v_pk_mul_f32 v[170:171], v[68:69], s[28:29] op_sel_hi:[1,0]
	v_mov_b32_e32 v145, v153
	v_pk_fma_f32 v[172:173], v[62:63], s[22:23], v[170:171] op_sel_hi:[1,0,1] neg_lo:[0,0,1] neg_hi:[0,0,1]
	v_pk_fma_f32 v[170:171], v[62:63], s[22:23], v[170:171] op_sel_hi:[1,0,1]
	v_mov_b32_e32 v174, v172
	v_mov_b32_e32 v175, v171
	v_pk_add_f32 v[154:155], v[174:175], v[154:155]
	v_pk_mul_f32 v[174:175], v[66:67], s[50:51] op_sel_hi:[1,0]
	v_mov_b32_e32 v111, v113
	v_pk_fma_f32 v[178:179], v[64:65], s[6:7], v[174:175] op_sel_hi:[1,0,1] neg_lo:[0,0,1] neg_hi:[0,0,1]
	v_pk_fma_f32 v[174:175], v[64:65], s[6:7], v[174:175] op_sel_hi:[1,0,1]
	v_mov_b32_e32 v180, v178
	v_mov_b32_e32 v181, v175
	v_pk_add_f32 v[154:155], v[180:181], v[154:155]
	ds_write2_b64 v108, v[114:115], v[154:155] offset0:6 offset1:7
	v_pk_fma_f32 v[114:115], v[46:47], s[20:21], v[48:49] op_sel:[0,0,1] op_sel_hi:[1,0,0] neg_lo:[0,0,1] neg_hi:[0,0,1]
	v_pk_fma_f32 v[46:47], v[46:47], s[20:21], v[48:49] op_sel:[0,0,1] op_sel_hi:[1,0,0]
	v_pk_mul_f32 v[48:49], v[52:53], s[48:49] op_sel_hi:[1,0]
	v_mov_b32_e32 v147, v157
	v_pk_fma_f32 v[52:53], v[50:51], s[16:17], v[48:49] op_sel:[0,0,1] op_sel_hi:[1,0,0] neg_lo:[0,0,1] neg_hi:[0,0,1]
	v_pk_fma_f32 v[48:49], v[50:51], s[16:17], v[48:49] op_sel:[0,0,1] op_sel_hi:[1,0,0]
	v_mov_b32_e32 v50, v114
	v_mov_b32_e32 v51, v47
	v_pk_add_f32 v[50:51], v[50:51], v[0:1]
	v_mov_b32_e32 v154, v52
	v_mov_b32_e32 v155, v49
	v_pk_add_f32 v[50:51], v[154:155], v[50:51]
	v_pk_fma_f32 v[154:155], v[42:43], s[40:41], v[44:45] op_sel:[0,0,1] op_sel_hi:[1,0,0] neg_lo:[0,0,1] neg_hi:[0,0,1]
	v_pk_fma_f32 v[42:43], v[42:43], s[40:41], v[44:45] op_sel:[0,0,1] op_sel_hi:[1,0,0]
	v_mov_b32_e32 v44, v154
	v_mov_b32_e32 v45, v43
	v_pk_add_f32 v[44:45], v[44:45], v[50:51]
	v_pk_fma_f32 v[50:51], v[20:21], s[22:23], v[40:41] op_sel:[0,0,1] op_sel_hi:[1,0,0] neg_lo:[0,0,1] neg_hi:[0,0,1]
	v_pk_fma_f32 v[20:21], v[20:21], s[22:23], v[40:41] op_sel:[0,0,1] op_sel_hi:[1,0,0]
	v_mov_b32_e32 v40, v50
	v_mov_b32_e32 v41, v21
	v_pk_add_f32 v[40:41], v[40:41], v[44:45]
	v_pk_mul_f32 v[44:45], v[58:59], s[18:19] op_sel_hi:[1,0]
	v_mov_b32_e32 v47, v115
	v_pk_fma_f32 v[58:59], v[56:57], s[14:15], v[44:45] op_sel:[0,0,1] op_sel_hi:[1,0,0] neg_lo:[0,0,1] neg_hi:[0,0,1]
	v_pk_fma_f32 v[44:45], v[56:57], s[14:15], v[44:45] op_sel:[0,0,1] op_sel_hi:[1,0,0]
	v_mov_b32_e32 v56, v58
	v_mov_b32_e32 v57, v45
	v_pk_add_f32 v[40:41], v[56:57], v[40:41]
	v_pk_mul_f32 v[56:57], v[70:71], s[38:39] op_sel_hi:[1,0]
	v_mov_b32_e32 v49, v53
	v_pk_fma_f32 v[70:71], v[54:55], s[4:5], v[56:57] op_sel_hi:[1,0,1] neg_lo:[0,0,1] neg_hi:[0,0,1]
	v_pk_fma_f32 v[54:55], v[54:55], s[4:5], v[56:57] op_sel_hi:[1,0,1]
	v_mov_b32_e32 v56, v70
	v_mov_b32_e32 v57, v55
	v_pk_add_f32 v[46:47], v[46:47], v[0:1]
	v_pk_add_f32 v[40:41], v[56:57], v[40:41]
	v_pk_mul_f32 v[56:57], v[68:69], s[50:51] op_sel_hi:[1,0]
	v_pk_add_f32 v[46:47], v[48:49], v[46:47]
	v_mov_b32_e32 v43, v155
	v_pk_fma_f32 v[68:69], v[62:63], s[6:7], v[56:57] op_sel_hi:[1,0,1] neg_lo:[0,0,1] neg_hi:[0,0,1]
	v_pk_fma_f32 v[56:57], v[62:63], s[6:7], v[56:57] op_sel_hi:[1,0,1]
	v_pk_add_f32 v[42:43], v[42:43], v[46:47]
	v_mov_b32_e32 v21, v51
	v_mov_b32_e32 v62, v68
	;; [unrolled: 1-line block ×3, first 2 shown]
	v_pk_add_f32 v[20:21], v[20:21], v[42:43]
	v_mov_b32_e32 v45, v59
	v_pk_add_f32 v[40:41], v[62:63], v[40:41]
	v_pk_mul_f32 v[62:63], v[66:67], s[42:43] op_sel_hi:[1,0]
	v_pk_add_f32 v[20:21], v[44:45], v[20:21]
	v_mov_b32_e32 v55, v71
	v_pk_fma_f32 v[66:67], v[64:65], s[24:25], v[62:63] op_sel_hi:[1,0,1] neg_lo:[0,0,1] neg_hi:[0,0,1]
	v_pk_fma_f32 v[62:63], v[64:65], s[24:25], v[62:63] op_sel_hi:[1,0,1]
	v_pk_add_f32 v[20:21], v[54:55], v[20:21]
	v_mov_b32_e32 v57, v69
	v_mov_b32_e32 v64, v66
	;; [unrolled: 1-line block ×3, first 2 shown]
	v_pk_add_f32 v[20:21], v[56:57], v[20:21]
	v_mov_b32_e32 v63, v67
	v_pk_add_f32 v[40:41], v[64:65], v[40:41]
	v_pk_add_f32 v[20:21], v[62:63], v[20:21]
	ds_write2_b64 v108, v[40:41], v[20:21] offset0:8 offset1:9
	v_pk_add_f32 v[20:21], v[144:145], v[0:1]
	v_pk_add_f32 v[40:41], v[110:111], v[0:1]
	v_mov_b32_e32 v117, v119
	v_pk_add_f32 v[20:21], v[146:147], v[20:21]
	v_mov_b32_e32 v149, v159
	;; [unrolled: 2-line block ×13, first 2 shown]
	v_pk_add_f32 v[20:21], v[174:175], v[20:21]
	v_pk_add_f32 v[40:41], v[140:141], v[40:41]
	v_mov_b32_e32 v75, v73
	v_mov_b32_e32 v9, v3
	ds_write2_b64 v108, v[20:21], v[40:41] offset0:10 offset1:11
	v_pk_add_f32 v[20:21], v[74:75], v[0:1]
	v_mov_b32_e32 v83, v81
	v_pk_add_f32 v[0:1], v[8:9], v[0:1]
	v_mov_b32_e32 v13, v11
	;; [unrolled: 2-line block ×14, first 2 shown]
	v_pk_add_f32 v[20:21], v[106:107], v[20:21]
	v_pk_add_f32 v[0:1], v[60:61], v[0:1]
	ds_write2_b64 v108, v[20:21], v[0:1] offset0:12 offset1:13
	ds_write2_b64 v108, v[4:5], v[6:7] offset0:14 offset1:15
	ds_write_b64 v108, v[22:23] offset:128
.LBB0_7:
	s_or_b64 exec, exec, s[0:1]
	v_add_lshl_u32 v197, v176, v76, 3
	v_add_u32_e32 v8, 0x800, v197
	s_waitcnt lgkmcnt(0)
	s_barrier
	ds_read2_b64 v[32:35], v197 offset1:34
	ds_read2_b64 v[0:3], v197 offset0:204 offset1:255
	ds_read2_b64 v[28:31], v8 offset0:33 offset1:67
	;; [unrolled: 1-line block ×6, first 2 shown]
	v_cmp_gt_u16_e64 s[0:1], 17, v76
	s_and_saveexec_b64 s[4:5], s[0:1]
	s_cbranch_execz .LBB0_9
; %bb.8:
	v_add_u32_e32 v4, 0x770, v197
	ds_read2_b64 v[4:7], v4 offset1:255
.LBB0_9:
	s_or_b64 exec, exec, s[4:5]
	s_movk_i32 s4, 0xffef
	s_mov_b32 s5, -1
	v_lshl_add_u64 v[20:21], v[76:77], 0, s[4:5]
	v_lshl_add_u64 v[44:45], v[76:77], 0, 34
	v_cndmask_b32_e64 v21, v21, 0, s[0:1]
	v_cndmask_b32_e64 v20, v20, v76, s[0:1]
	s_movk_i32 s6, 0xf1
	v_lshl_add_u64 v[36:37], v[20:21], 3, s[10:11]
	v_mul_lo_u16_sdwa v21, v44, s6 dst_sel:DWORD dst_unused:UNUSED_PAD src0_sel:BYTE_0 src1_sel:DWORD
	v_lshrrev_b16_e32 v21, 12, v21
	global_load_dwordx2 v[216:217], v[36:37], off
	v_mul_lo_u16_e32 v36, 17, v21
	v_sub_u16_e32 v41, v44, v36
	v_add_u32_e32 v36, 0xee, v76
	s_mov_b32 s4, 0xf0f1
	v_mul_u32_u24_sdwa v37, v36, s4 dst_sel:DWORD dst_unused:UNUSED_PAD src0_sel:WORD_0 src1_sel:DWORD
	v_lshrrev_b32_e32 v37, 20, v37
	v_mul_lo_u16_e32 v37, 17, v37
	v_sub_u16_e32 v201, v36, v37
	v_mov_b32_e32 v42, 3
	v_lshlrev_b32_e32 v36, 3, v201
	global_load_dwordx2 v[202:203], v36, s[10:11]
	v_lshlrev_b32_sdwa v36, v42, v41 dst_sel:DWORD dst_unused:UNUSED_PAD src0_sel:DWORD src1_sel:BYTE_0
	s_mov_b64 s[4:5], 0x44
	global_load_dwordx2 v[84:85], v36, s[10:11]
	v_lshl_add_u64 v[46:47], v[76:77], 0, s[4:5]
	v_mul_lo_u16_sdwa v40, v46, s6 dst_sel:DWORD dst_unused:UNUSED_PAD src0_sel:BYTE_0 src1_sel:DWORD
	v_lshrrev_b16_e32 v43, 12, v40
	v_mul_lo_u16_e32 v36, 17, v43
	v_sub_u16_e32 v52, v46, v36
	v_lshlrev_b32_sdwa v36, v42, v52 dst_sel:DWORD dst_unused:UNUSED_PAD src0_sel:DWORD src1_sel:BYTE_0
	global_load_dwordx2 v[86:87], v36, s[10:11]
	v_add_u16_e32 v37, 0x66, v76
	v_mul_lo_u16_sdwa v39, v37, s6 dst_sel:DWORD dst_unused:UNUSED_PAD src0_sel:BYTE_0 src1_sel:DWORD
	v_lshrrev_b16_e32 v53, 12, v39
	v_mul_lo_u16_e32 v36, 17, v53
	v_sub_u16_e32 v54, v37, v36
	v_lshlrev_b32_sdwa v36, v42, v54 dst_sel:DWORD dst_unused:UNUSED_PAD src0_sel:DWORD src1_sel:BYTE_0
	global_load_dwordx2 v[88:89], v36, s[10:11]
	v_add_u16_e32 v36, 0x88, v76
	;; [unrolled: 7-line block ×4, first 2 shown]
	v_mul_lo_u16_sdwa v49, v48, s6 dst_sel:DWORD dst_unused:UNUSED_PAD src0_sel:BYTE_0 src1_sel:DWORD
	v_lshrrev_b16_e32 v59, 12, v49
	v_mul_lo_u16_e32 v49, 17, v59
	v_sub_u16_e32 v60, v48, v49
	v_lshlrev_b32_sdwa v42, v42, v60 dst_sel:DWORD dst_unused:UNUSED_PAD src0_sel:DWORD src1_sel:BYTE_0
	global_load_dwordx2 v[94:95], v42, s[10:11]
	s_load_dwordx4 s[4:7], s[2:3], 0x0
	v_cmp_lt_u16_e64 s[2:3], 16, v76
	v_mul_u32_u24_e32 v61, 34, v43
	s_waitcnt lgkmcnt(0)
	v_cndmask_b32_e64 v42, 0, 34, s[2:3]
	v_add_u32_e32 v20, v20, v42
	v_add_lshl_u32 v204, v176, v20, 3
	v_mad_legacy_u16 v20, v21, 34, v41
	v_and_b32_e32 v20, 0xff, v20
	v_add_lshl_u32 v206, v176, v20, 3
	s_barrier
	s_waitcnt vmcnt(7)
	v_pk_mul_f32 v[20:21], v[2:3], v[216:217] op_sel:[0,1]
	s_nop 0
	v_pk_fma_f32 v[42:43], v[2:3], v[216:217], v[20:21] op_sel:[0,0,1] op_sel_hi:[1,1,0] neg_lo:[0,0,1] neg_hi:[0,0,1]
	v_pk_fma_f32 v[2:3], v[2:3], v[216:217], v[20:21] op_sel:[0,0,1] op_sel_hi:[1,0,0]
	s_waitcnt vmcnt(6)
	v_pk_mul_f32 v[20:21], v[6:7], v[202:203] op_sel:[1,0]
	v_mov_b32_e32 v43, v3
	v_pk_fma_f32 v[48:49], v[6:7], v[202:203], v[20:21] op_sel:[0,0,1] op_sel_hi:[1,1,0] neg_lo:[0,0,1] neg_hi:[0,0,1]
	s_waitcnt vmcnt(5)
	v_pk_mul_f32 v[2:3], v[28:29], v[84:85] op_sel:[0,1]
	v_pk_fma_f32 v[6:7], v[6:7], v[202:203], v[20:21] op_sel:[0,0,1] op_sel_hi:[0,1,0]
	v_pk_fma_f32 v[50:51], v[28:29], v[84:85], v[2:3] op_sel:[0,0,1] op_sel_hi:[1,1,0] neg_lo:[0,0,1] neg_hi:[0,0,1]
	v_pk_fma_f32 v[2:3], v[28:29], v[84:85], v[2:3] op_sel:[0,0,1] op_sel_hi:[1,0,0]
	v_pk_add_f32 v[42:43], v[32:33], v[42:43] neg_lo:[0,1] neg_hi:[0,1]
	v_mov_b32_e32 v51, v3
	v_mov_b32_e32 v49, v7
	v_pk_fma_f32 v[6:7], v[32:33], 2.0, v[42:43] op_sel_hi:[1,0,1] neg_lo:[0,0,1] neg_hi:[0,0,1]
	v_pk_add_f32 v[2:3], v[34:35], v[50:51] neg_lo:[0,1] neg_hi:[0,1]
	ds_write2_b64 v204, v[6:7], v[42:43] offset1:17
	v_pk_fma_f32 v[6:7], v[34:35], 2.0, v[2:3] op_sel_hi:[1,0,1] neg_lo:[0,0,1] neg_hi:[0,0,1]
	ds_write2_b64 v206, v[6:7], v[2:3] offset1:17
	v_add_u32_sdwa v2, v61, v52 dst_sel:DWORD dst_unused:UNUSED_PAD src0_sel:DWORD src1_sel:BYTE_0
	v_add_lshl_u32 v208, v176, v2, 3
	s_waitcnt vmcnt(4)
	v_pk_mul_f32 v[2:3], v[30:31], v[86:87] op_sel:[0,1]
	v_pk_add_f32 v[20:21], v[4:5], v[48:49] neg_lo:[0,1] neg_hi:[0,1]
	v_pk_fma_f32 v[6:7], v[30:31], v[86:87], v[2:3] op_sel:[0,0,1] op_sel_hi:[1,1,0] neg_lo:[0,0,1] neg_hi:[0,0,1]
	v_pk_fma_f32 v[2:3], v[30:31], v[86:87], v[2:3] op_sel:[0,0,1] op_sel_hi:[1,0,0]
	s_nop 0
	v_mov_b32_e32 v7, v3
	v_pk_add_f32 v[2:3], v[24:25], v[6:7] neg_lo:[0,1] neg_hi:[0,1]
	s_nop 0
	v_pk_fma_f32 v[6:7], v[24:25], 2.0, v[2:3] op_sel_hi:[1,0,1] neg_lo:[0,0,1] neg_hi:[0,0,1]
	ds_write2_b64 v208, v[6:7], v[2:3] offset1:17
	v_mul_u32_u24_e32 v2, 34, v53
	v_add_u32_sdwa v2, v2, v54 dst_sel:DWORD dst_unused:UNUSED_PAD src0_sel:DWORD src1_sel:BYTE_0
	v_add_lshl_u32 v209, v176, v2, 3
	s_waitcnt vmcnt(3)
	v_pk_mul_f32 v[2:3], v[16:17], v[88:89] op_sel:[0,1]
	s_nop 0
	v_pk_fma_f32 v[6:7], v[16:17], v[88:89], v[2:3] op_sel:[0,0,1] op_sel_hi:[1,1,0] neg_lo:[0,0,1] neg_hi:[0,0,1]
	v_pk_fma_f32 v[2:3], v[16:17], v[88:89], v[2:3] op_sel:[0,0,1] op_sel_hi:[1,0,0]
	s_nop 0
	v_mov_b32_e32 v7, v3
	v_pk_add_f32 v[2:3], v[26:27], v[6:7] neg_lo:[0,1] neg_hi:[0,1]
	s_nop 0
	v_pk_fma_f32 v[6:7], v[26:27], 2.0, v[2:3] op_sel_hi:[1,0,1] neg_lo:[0,0,1] neg_hi:[0,0,1]
	ds_write2_b64 v209, v[6:7], v[2:3] offset1:17
	v_mul_u32_u24_e32 v2, 34, v55
	v_add_u32_sdwa v2, v2, v56 dst_sel:DWORD dst_unused:UNUSED_PAD src0_sel:DWORD src1_sel:BYTE_0
	v_add_lshl_u32 v212, v176, v2, 3
	s_waitcnt vmcnt(2)
	v_pk_mul_f32 v[2:3], v[18:19], v[90:91] op_sel:[0,1]
	s_nop 0
	;; [unrolled: 14-line block ×4, first 2 shown]
	v_pk_fma_f32 v[6:7], v[10:11], v[94:95], v[2:3] op_sel:[0,0,1] op_sel_hi:[1,1,0] neg_lo:[0,0,1] neg_hi:[0,0,1]
	v_pk_fma_f32 v[2:3], v[10:11], v[94:95], v[2:3] op_sel:[0,0,1] op_sel_hi:[1,0,0]
	s_nop 0
	v_mov_b32_e32 v7, v3
	v_pk_add_f32 v[2:3], v[0:1], v[6:7] neg_lo:[0,1] neg_hi:[0,1]
	s_nop 0
	v_pk_fma_f32 v[0:1], v[0:1], 2.0, v[2:3] op_sel_hi:[1,0,1] neg_lo:[0,0,1] neg_hi:[0,0,1]
	ds_write2_b64 v215, v[0:1], v[2:3] offset1:17
	s_and_saveexec_b64 s[2:3], s[0:1]
	s_cbranch_execz .LBB0_11
; %bb.10:
	v_add_lshl_u32 v2, v176, v201, 3
	v_pk_fma_f32 v[0:1], v[4:5], 2.0, v[20:21] op_sel_hi:[1,0,1] neg_lo:[0,0,1] neg_hi:[0,0,1]
	v_add_u32_e32 v2, 0x800, v2
	ds_write2_b64 v2, v[0:1], v[20:21] offset0:220 offset1:237
.LBB0_11:
	s_or_b64 exec, exec, s[2:3]
	v_lshrrev_b16_e32 v4, 13, v40
	v_lshrrev_b16_e32 v5, 13, v39
	;; [unrolled: 1-line block ×3, first 2 shown]
	v_lshlrev_b32_e32 v0, 4, v76
	v_mul_lo_u16_e32 v4, 34, v4
	v_mul_lo_u16_e32 v5, 34, v5
	;; [unrolled: 1-line block ×3, first 2 shown]
	s_waitcnt lgkmcnt(0)
	s_barrier
	global_load_dwordx4 v[0:3], v0, s[10:11] offset:136
	v_sub_u16_e32 v5, v37, v5
	v_sub_u16_e32 v6, v36, v6
	;; [unrolled: 1-line block ×3, first 2 shown]
	v_and_b32_e32 v54, 0xff, v5
	v_and_b32_e32 v55, 0xff, v6
	v_and_b32_e32 v56, 0xff, v4
	v_lshlrev_b32_e32 v5, 4, v54
	v_lshlrev_b32_e32 v6, 4, v55
	;; [unrolled: 1-line block ×3, first 2 shown]
	global_load_dwordx4 v[8:11], v5, s[10:11] offset:136
	global_load_dwordx4 v[12:15], v6, s[10:11] offset:136
	ds_read2_b64 v[16:19], v197 offset0:136 offset1:170
	global_load_dwordx4 v[4:7], v4, s[10:11] offset:136
	ds_read_b64 v[52:53], v197 offset:3808
	ds_read2_b64 v[24:27], v197 offset0:68 offset1:102
	ds_read2_b64 v[28:31], v197 offset0:204 offset1:238
	v_add_u32_e32 v74, 0x800, v197
	ds_read2_b64 v[32:35], v197 offset1:34
	ds_read2_b64 v[36:39], v74 offset0:16 offset1:50
	ds_read2_b64 v[40:43], v74 offset0:152 offset1:186
	;; [unrolled: 1-line block ×3, first 2 shown]
	v_add_lshl_u32 v213, v176, v56, 3
	v_add_lshl_u32 v207, v176, v54, 3
	;; [unrolled: 1-line block ×3, first 2 shown]
	s_mov_b32 s2, 0x3f5db3d7
	s_waitcnt lgkmcnt(0)
	s_barrier
	s_mov_b32 s14, 0x3e9e377a
	v_lshl_add_u32 v77, v76, 3, v199
	s_waitcnt vmcnt(3)
	v_pk_mul_f32 v[54:55], v[28:29], v[0:1] op_sel:[0,1]
	v_mov_b32_e32 v56, v3
	v_pk_mul_f32 v[58:59], v[18:19], v[0:1] op_sel:[0,1]
	v_pk_fma_f32 v[60:61], v[28:29], v[0:1], v[54:55] op_sel:[0,0,1] op_sel_hi:[1,1,0] neg_lo:[0,0,1] neg_hi:[0,0,1]
	v_pk_fma_f32 v[28:29], v[28:29], v[0:1], v[54:55] op_sel:[0,0,1] op_sel_hi:[1,0,0]
	v_pk_mul_f32 v[54:55], v[50:51], v[56:57] op_sel_hi:[1,0]
	v_pk_fma_f32 v[62:63], v[18:19], v[0:1], v[58:59] op_sel:[0,0,1] op_sel_hi:[1,1,0] neg_lo:[0,0,1] neg_hi:[0,0,1]
	v_pk_fma_f32 v[18:19], v[18:19], v[0:1], v[58:59] op_sel:[0,0,1] op_sel_hi:[1,0,0]
	v_mov_b32_e32 v61, v29
	v_pk_fma_f32 v[28:29], v[50:51], v[2:3], v[54:55] op_sel:[0,0,1] op_sel_hi:[1,1,0] neg_lo:[0,0,1] neg_hi:[0,0,1]
	v_pk_fma_f32 v[50:51], v[50:51], v[2:3], v[54:55] op_sel:[0,0,1] op_sel_hi:[1,0,0]
	v_mov_b32_e32 v63, v19
	s_waitcnt vmcnt(1)
	v_pk_mul_f32 v[18:19], v[38:39], v[12:13] op_sel:[0,1]
	v_mov_b32_e32 v50, v15
	v_pk_mul_f32 v[54:55], v[36:37], v[8:9] op_sel:[0,1]
	v_mov_b32_e32 v58, v11
	s_waitcnt vmcnt(0)
	v_pk_mul_f32 v[64:65], v[30:31], v[4:5] op_sel:[0,1]
	v_mov_b32_e32 v66, v7
	v_mov_b32_e32 v29, v51
	v_pk_fma_f32 v[72:73], v[38:39], v[12:13], v[18:19] op_sel:[0,0,1] op_sel_hi:[1,1,0] neg_lo:[0,0,1] neg_hi:[0,0,1]
	v_pk_fma_f32 v[18:19], v[38:39], v[12:13], v[18:19] op_sel:[0,0,1] op_sel_hi:[1,0,0]
	v_pk_mul_f32 v[38:39], v[52:53], v[50:51] op_sel_hi:[1,0]
	v_pk_fma_f32 v[50:51], v[36:37], v[8:9], v[54:55] op_sel:[0,0,1] op_sel_hi:[1,1,0] neg_lo:[0,0,1] neg_hi:[0,0,1]
	v_pk_fma_f32 v[36:37], v[36:37], v[8:9], v[54:55] op_sel:[0,0,1] op_sel_hi:[1,0,0]
	v_pk_mul_f32 v[54:55], v[42:43], v[58:59] op_sel_hi:[1,0]
	;; [unrolled: 3-line block ×3, first 2 shown]
	v_mov_b32_e32 v51, v37
	v_pk_fma_f32 v[36:37], v[42:43], v[10:11], v[54:55] op_sel:[0,0,1] op_sel_hi:[1,1,0] neg_lo:[0,0,1] neg_hi:[0,0,1]
	v_pk_fma_f32 v[42:43], v[42:43], v[10:11], v[54:55] op_sel:[0,0,1] op_sel_hi:[1,0,0]
	v_mov_b32_e32 v59, v31
	v_pk_fma_f32 v[30:31], v[40:41], v[6:7], v[64:65] op_sel:[0,0,1] op_sel_hi:[1,1,0] neg_lo:[0,0,1] neg_hi:[0,0,1]
	v_pk_fma_f32 v[40:41], v[40:41], v[6:7], v[64:65] op_sel:[0,0,1] op_sel_hi:[1,0,0]
	v_mov_b32_e32 v37, v43
	v_pk_add_f32 v[42:43], v[26:27], v[50:51]
	v_mov_b32_e32 v31, v41
	v_pk_add_f32 v[68:69], v[60:61], v[28:29]
	v_pk_add_f32 v[70:71], v[60:61], v[28:29] neg_lo:[0,1] neg_hi:[0,1]
	v_pk_add_f32 v[40:41], v[42:43], v[36:37]
	v_pk_add_f32 v[42:43], v[58:59], v[30:31]
	v_pk_add_f32 v[64:65], v[58:59], v[30:31] neg_lo:[0,1] neg_hi:[0,1]
	v_pk_fma_f32 v[66:67], v[68:69], 0.5, v[34:35] op_sel_hi:[1,0,1] neg_lo:[1,0,0] neg_hi:[1,0,0]
	v_pk_mul_f32 v[68:69], v[70:71], s[2:3] op_sel_hi:[1,0]
	v_pk_fma_f32 v[42:43], v[42:43], 0.5, v[24:25] op_sel_hi:[1,0,1] neg_lo:[1,0,0] neg_hi:[1,0,0]
	v_pk_mul_f32 v[64:65], v[64:65], s[2:3] op_sel_hi:[1,0]
	v_pk_mul_f32 v[56:57], v[48:49], v[56:57] op_sel_hi:[1,0]
	v_mov_b32_e32 v73, v19
	v_pk_fma_f32 v[18:19], v[52:53], v[14:15], v[38:39] op_sel:[0,0,1] op_sel_hi:[1,1,0] neg_lo:[0,0,1] neg_hi:[0,0,1]
	v_pk_fma_f32 v[38:39], v[52:53], v[14:15], v[38:39] op_sel:[0,0,1] op_sel_hi:[1,0,0]
	v_pk_add_f32 v[52:53], v[66:67], v[68:69] op_sel:[0,1] op_sel_hi:[1,0] neg_lo:[0,1] neg_hi:[0,1]
	v_pk_add_f32 v[54:55], v[66:67], v[68:69] op_sel:[0,1] op_sel_hi:[1,0]
	v_pk_add_f32 v[66:67], v[42:43], v[64:65] op_sel:[0,1] op_sel_hi:[1,0]
	v_pk_add_f32 v[42:43], v[42:43], v[64:65] op_sel:[0,1] op_sel_hi:[1,0] neg_lo:[0,1] neg_hi:[0,1]
	v_pk_fma_f32 v[64:65], v[48:49], v[2:3], v[56:57] op_sel:[0,0,1] op_sel_hi:[1,1,0] neg_lo:[0,0,1] neg_hi:[0,0,1]
	v_pk_fma_f32 v[48:49], v[48:49], v[2:3], v[56:57] op_sel:[0,0,1] op_sel_hi:[1,0,0]
	v_pk_add_f32 v[34:35], v[34:35], v[60:61]
	v_mov_b32_e32 v65, v49
	v_pk_add_f32 v[56:57], v[62:63], v[64:65]
	v_pk_add_f32 v[48:49], v[32:33], v[62:63]
	v_pk_fma_f32 v[32:33], v[56:57], 0.5, v[32:33] op_sel_hi:[1,0,1] neg_lo:[1,0,0] neg_hi:[1,0,0]
	v_pk_add_f32 v[56:57], v[62:63], v[64:65] neg_lo:[0,1] neg_hi:[0,1]
	v_pk_add_f32 v[28:29], v[34:35], v[28:29]
	v_pk_mul_f32 v[56:57], v[56:57], s[2:3] op_sel_hi:[1,0]
	v_pk_add_f32 v[24:25], v[24:25], v[58:59]
	v_pk_add_f32 v[62:63], v[32:33], v[56:57] op_sel:[0,1] op_sel_hi:[1,0]
	v_pk_add_f32 v[32:33], v[32:33], v[56:57] op_sel:[0,1] op_sel_hi:[1,0] neg_lo:[0,1] neg_hi:[0,1]
	v_pk_add_f32 v[48:49], v[48:49], v[64:65]
	v_mov_b32_e32 v57, v33
	v_mov_b32_e32 v33, v63
	ds_write2_b64 v197, v[32:33], v[28:29] offset0:68 offset1:102
	v_mov_b32_e32 v28, v54
	v_mov_b32_e32 v29, v53
	;; [unrolled: 1-line block ×4, first 2 shown]
	ds_write2_b64 v197, v[28:29], v[52:53] offset0:136 offset1:170
	v_pk_add_f32 v[24:25], v[24:25], v[30:31]
	v_mov_b32_e32 v28, v66
	v_mov_b32_e32 v29, v43
	ds_write2_b64 v197, v[48:49], v[56:57] offset1:34
	ds_write2_b64 v213, v[24:25], v[28:29] offset0:204 offset1:238
	v_pk_add_f32 v[24:25], v[50:51], v[36:37]
	v_mov_b32_e32 v43, v67
	v_pk_fma_f32 v[24:25], v[24:25], 0.5, v[26:27] op_sel_hi:[1,0,1] neg_lo:[1,0,0] neg_hi:[1,0,0]
	v_pk_add_f32 v[26:27], v[50:51], v[36:37] neg_lo:[0,1] neg_hi:[0,1]
	v_mov_b32_e32 v19, v39
	v_pk_mul_f32 v[26:27], v[26:27], s[2:3] op_sel_hi:[1,0]
	v_pk_add_f32 v[38:39], v[16:17], v[72:73]
	v_pk_add_f32 v[28:29], v[24:25], v[26:27] op_sel:[0,1] op_sel_hi:[1,0]
	v_pk_add_f32 v[24:25], v[24:25], v[26:27] op_sel:[0,1] op_sel_hi:[1,0] neg_lo:[0,1] neg_hi:[0,1]
	v_mov_b32_e32 v26, v28
	v_mov_b32_e32 v27, v25
	v_add_u32_e32 v25, 0x800, v207
	ds_write_b64 v213, v[42:43] offset:2176
	ds_write2_b64 v25, v[40:41], v[26:27] offset0:50 offset1:84
	v_mov_b32_e32 v25, v29
	v_pk_add_f32 v[38:39], v[38:39], v[18:19]
	ds_write_b64 v207, v[24:25] offset:2992
	v_pk_add_f32 v[24:25], v[72:73], v[18:19]
	v_pk_add_f32 v[18:19], v[72:73], v[18:19] neg_lo:[0,1] neg_hi:[0,1]
	v_pk_fma_f32 v[16:17], v[24:25], 0.5, v[16:17] op_sel_hi:[1,0,1] neg_lo:[1,0,0] neg_hi:[1,0,0]
	v_pk_mul_f32 v[18:19], v[18:19], s[2:3] op_sel_hi:[1,0]
	s_mov_b32 s2, 0x3f737871
	v_pk_add_f32 v[24:25], v[16:17], v[18:19] op_sel:[0,1] op_sel_hi:[1,0]
	v_pk_add_f32 v[16:17], v[16:17], v[18:19] op_sel:[0,1] op_sel_hi:[1,0] neg_lo:[0,1] neg_hi:[0,1]
	v_mov_b32_e32 v18, v24
	v_mov_b32_e32 v19, v17
	v_add_u32_e32 v17, 0x800, v205
	ds_write2_b64 v17, v[38:39], v[18:19] offset0:152 offset1:186
	v_mov_b32_e32 v17, v25
	ds_write_b64 v205, v[16:17] offset:3808
	v_lshlrev_b32_e32 v16, 5, v76
	s_waitcnt lgkmcnt(0)
	s_barrier
	global_load_dwordx4 v[40:43], v16, s[10:11] offset:680
	global_load_dwordx4 v[36:39], v16, s[10:11] offset:696
	v_lshlrev_b64 v[16:17], 5, v[44:45]
	v_lshl_add_u64 v[16:17], s[10:11], 0, v[16:17]
	global_load_dwordx4 v[32:35], v[16:17], off offset:680
	global_load_dwordx4 v[28:31], v[16:17], off offset:696
	v_lshlrev_b64 v[16:17], 5, v[46:47]
	v_lshl_add_u64 v[44:45], s[10:11], 0, v[16:17]
	global_load_dwordx4 v[16:19], v[44:45], off offset:696
	global_load_dwordx4 v[24:27], v[44:45], off offset:680
	ds_read2_b64 v[44:47], v197 offset1:34
	ds_read2_b64 v[70:73], v197 offset0:68 offset1:102
	ds_read2_b64 v[48:51], v197 offset0:204 offset1:238
	;; [unrolled: 1-line block ×6, first 2 shown]
	s_mov_b32 s10, 0x3f167918
	s_waitcnt vmcnt(5) lgkmcnt(5)
	v_pk_mul_f32 v[56:57], v[72:73], v[40:41] op_sel:[0,1]
	v_mov_b32_e32 v74, v43
	v_pk_fma_f32 v[98:99], v[72:73], v[40:41], v[56:57] op_sel:[0,0,1] op_sel_hi:[1,1,0] neg_lo:[0,0,1] neg_hi:[0,0,1]
	v_pk_fma_f32 v[56:57], v[72:73], v[40:41], v[56:57] op_sel:[0,0,1] op_sel_hi:[1,0,0]
	s_waitcnt lgkmcnt(4)
	v_pk_mul_f32 v[72:73], v[48:49], v[74:75] op_sel_hi:[1,0]
	v_mov_b32_e32 v99, v57
	v_pk_fma_f32 v[56:57], v[48:49], v[42:43], v[72:73] op_sel:[0,0,1] op_sel_hi:[1,1,0] neg_lo:[0,0,1] neg_hi:[0,0,1]
	v_pk_fma_f32 v[48:49], v[48:49], v[42:43], v[72:73] op_sel:[0,0,1] op_sel_hi:[1,0,0]
	s_nop 0
	v_mov_b32_e32 v57, v49
	s_waitcnt vmcnt(4) lgkmcnt(3)
	v_pk_mul_f32 v[48:49], v[60:61], v[36:37] op_sel:[0,1]
	v_pk_add_f32 v[104:105], v[98:99], v[56:57] neg_lo:[0,1] neg_hi:[0,1]
	v_pk_fma_f32 v[72:73], v[60:61], v[36:37], v[48:49] op_sel:[0,0,1] op_sel_hi:[1,1,0] neg_lo:[0,0,1] neg_hi:[0,0,1]
	v_pk_fma_f32 v[48:49], v[60:61], v[36:37], v[48:49] op_sel:[0,0,1] op_sel_hi:[1,0,0]
	s_nop 0
	v_mov_b32_e32 v48, v39
	v_mov_b32_e32 v73, v49
	s_waitcnt lgkmcnt(2)
	v_pk_mul_f32 v[48:49], v[52:53], v[48:49] op_sel_hi:[1,0]
	v_pk_add_f32 v[102:103], v[56:57], v[72:73] neg_lo:[0,1] neg_hi:[0,1]
	v_pk_fma_f32 v[60:61], v[52:53], v[38:39], v[48:49] op_sel:[0,0,1] op_sel_hi:[1,1,0] neg_lo:[0,0,1] neg_hi:[0,0,1]
	v_pk_fma_f32 v[48:49], v[52:53], v[38:39], v[48:49] op_sel:[0,0,1] op_sel_hi:[1,0,0]
	s_nop 0
	v_mov_b32_e32 v61, v49
	s_waitcnt vmcnt(3) lgkmcnt(1)
	v_pk_mul_f32 v[48:49], v[62:63], v[32:33] op_sel:[0,1]
	v_pk_add_f32 v[106:107], v[60:61], v[72:73] neg_lo:[0,1] neg_hi:[0,1]
	v_pk_fma_f32 v[74:75], v[62:63], v[32:33], v[48:49] op_sel:[0,0,1] op_sel_hi:[1,1,0] neg_lo:[0,0,1] neg_hi:[0,0,1]
	v_pk_fma_f32 v[48:49], v[62:63], v[32:33], v[48:49] op_sel:[0,0,1] op_sel_hi:[1,0,0]
	v_pk_add_f32 v[104:105], v[104:105], v[106:107]
	v_mov_b32_e32 v48, v35
	v_mov_b32_e32 v75, v49
	v_pk_mul_f32 v[48:49], v[50:51], v[48:49] op_sel_hi:[1,0]
	s_nop 0
	v_pk_fma_f32 v[62:63], v[50:51], v[34:35], v[48:49] op_sel:[0,0,1] op_sel_hi:[1,1,0] neg_lo:[0,0,1] neg_hi:[0,0,1]
	v_pk_fma_f32 v[48:49], v[50:51], v[34:35], v[48:49] op_sel:[0,0,1] op_sel_hi:[1,0,0]
	v_pk_add_f32 v[50:51], v[98:99], v[60:61] neg_lo:[0,1] neg_hi:[0,1]
	v_mov_b32_e32 v63, v49
	s_waitcnt vmcnt(2) lgkmcnt(0)
	v_pk_mul_f32 v[48:49], v[66:67], v[28:29] op_sel:[0,1]
	s_nop 0
	v_pk_fma_f32 v[100:101], v[66:67], v[28:29], v[48:49] op_sel:[0,0,1] op_sel_hi:[1,1,0] neg_lo:[0,0,1] neg_hi:[0,0,1]
	v_pk_fma_f32 v[48:49], v[66:67], v[28:29], v[48:49] op_sel:[0,0,1] op_sel_hi:[1,0,0]
	s_nop 0
	v_mov_b32_e32 v48, v31
	v_mov_b32_e32 v101, v49
	v_pk_mul_f32 v[48:49], v[54:55], v[48:49] op_sel_hi:[1,0]
	v_pk_add_f32 v[106:107], v[62:63], v[100:101] neg_lo:[0,1] neg_hi:[0,1]
	v_pk_fma_f32 v[66:67], v[54:55], v[30:31], v[48:49] op_sel:[0,0,1] op_sel_hi:[1,1,0] neg_lo:[0,0,1] neg_hi:[0,0,1]
	v_pk_fma_f32 v[48:49], v[54:55], v[30:31], v[48:49] op_sel:[0,0,1] op_sel_hi:[1,0,0]
	v_pk_mul_f32 v[108:109], v[106:107], s[10:11] op_sel_hi:[1,0]
	v_mov_b32_e32 v67, v49
	v_pk_add_f32 v[48:49], v[44:45], v[98:99]
	s_nop 0
	v_pk_add_f32 v[48:49], v[48:49], v[56:57]
	s_nop 0
	;; [unrolled: 2-line block ×3, first 2 shown]
	v_pk_add_f32 v[96:97], v[48:49], v[60:61]
	v_pk_add_f32 v[48:49], v[56:57], v[72:73]
	v_pk_add_f32 v[56:57], v[56:57], v[98:99] neg_lo:[0,1] neg_hi:[0,1]
	v_pk_fma_f32 v[48:49], v[48:49], 0.5, v[44:45] op_sel_hi:[1,0,1] neg_lo:[1,0,0] neg_hi:[1,0,0]
	s_nop 0
	v_pk_fma_f32 v[52:53], v[50:51], s[2:3], v[48:49] op_sel:[1,0,0] op_sel_hi:[0,0,1]
	v_pk_fma_f32 v[48:49], v[50:51], s[2:3], v[48:49] op_sel:[1,0,0] op_sel_hi:[0,0,1] neg_lo:[1,0,0] neg_hi:[1,0,0]
	v_pk_fma_f32 v[54:55], v[102:103], s[10:11], v[48:49] op_sel:[1,0,0] op_sel_hi:[0,0,1] neg_lo:[1,0,0] neg_hi:[1,0,0]
	v_pk_fma_f32 v[52:53], v[102:103], s[10:11], v[52:53] op_sel:[1,0,0] op_sel_hi:[0,0,1]
	v_mov_b32_e32 v48, v52
	v_mov_b32_e32 v49, v55
	;; [unrolled: 1-line block ×3, first 2 shown]
	v_pk_add_f32 v[52:53], v[98:99], v[60:61]
	v_pk_add_f32 v[60:61], v[72:73], v[60:61] neg_lo:[0,1] neg_hi:[0,1]
	v_pk_fma_f32 v[44:45], v[52:53], 0.5, v[44:45] op_sel_hi:[1,0,1] neg_lo:[1,0,0] neg_hi:[1,0,0]
	v_pk_add_f32 v[56:57], v[56:57], v[60:61]
	v_pk_fma_f32 v[52:53], v[102:103], s[2:3], v[44:45] op_sel:[1,0,0] op_sel_hi:[0,0,1] neg_lo:[1,0,0] neg_hi:[1,0,0]
	v_pk_fma_f32 v[44:45], v[102:103], s[2:3], v[44:45] op_sel:[1,0,0] op_sel_hi:[0,0,1]
	v_pk_fma_f32 v[44:45], v[50:51], s[10:11], v[44:45] op_sel:[1,0,0] op_sel_hi:[0,0,1] neg_lo:[1,0,0] neg_hi:[1,0,0]
	v_pk_fma_f32 v[52:53], v[50:51], s[10:11], v[52:53] op_sel:[1,0,0] op_sel_hi:[0,0,1]
	v_mov_b32_e32 v51, v45
	v_mov_b32_e32 v45, v53
	;; [unrolled: 1-line block ×3, first 2 shown]
	v_pk_fma_f32 v[52:53], v[56:57], s[14:15], v[44:45] op_sel_hi:[1,0,1]
	v_pk_add_f32 v[44:45], v[46:47], v[74:75]
	s_waitcnt vmcnt(0)
	v_pk_mul_f32 v[72:73], v[64:65], v[24:25] op_sel:[0,1]
	v_pk_add_f32 v[44:45], v[44:45], v[62:63]
	v_pk_fma_f32 v[98:99], v[64:65], v[24:25], v[72:73] op_sel:[0,0,1] op_sel_hi:[1,1,0] neg_lo:[0,0,1] neg_hi:[0,0,1]
	v_pk_add_f32 v[44:45], v[44:45], v[100:101]
	v_pk_fma_f32 v[64:65], v[64:65], v[24:25], v[72:73] op_sel:[0,0,1] op_sel_hi:[1,0,0]
	v_pk_fma_f32 v[50:51], v[56:57], s[14:15], v[50:51] op_sel_hi:[1,0,1]
	v_pk_add_f32 v[56:57], v[44:45], v[66:67]
	v_pk_add_f32 v[44:45], v[74:75], v[62:63] neg_lo:[0,1] neg_hi:[0,1]
	v_pk_add_f32 v[60:61], v[66:67], v[100:101] neg_lo:[0,1] neg_hi:[0,1]
	v_mov_b32_e32 v64, v27
	v_pk_add_f32 v[44:45], v[44:45], v[60:61]
	ds_read_b64 v[60:61], v197 offset:3808
	v_mov_b32_e32 v99, v65
	v_pk_mul_f32 v[64:65], v[58:59], v[64:65] op_sel_hi:[1,0]
	v_pk_fma_f32 v[48:49], v[104:105], s[14:15], v[48:49] op_sel_hi:[1,0,1]
	v_pk_fma_f32 v[72:73], v[58:59], v[26:27], v[64:65] op_sel:[0,0,1] op_sel_hi:[1,1,0] neg_lo:[0,0,1] neg_hi:[0,0,1]
	v_pk_fma_f32 v[58:59], v[58:59], v[26:27], v[64:65] op_sel:[0,0,1] op_sel_hi:[1,0,0]
	v_pk_fma_f32 v[54:55], v[104:105], s[14:15], v[54:55] op_sel_hi:[1,0,1]
	v_mov_b32_e32 v73, v59
	v_pk_mul_f32 v[58:59], v[68:69], v[16:17] op_sel:[0,1]
	s_nop 0
	v_pk_fma_f32 v[102:103], v[68:69], v[16:17], v[58:59] op_sel:[0,0,1] op_sel_hi:[1,1,0] neg_lo:[0,0,1] neg_hi:[0,0,1]
	v_pk_fma_f32 v[58:59], v[68:69], v[16:17], v[58:59] op_sel:[0,0,1] op_sel_hi:[1,0,0]
	s_nop 0
	v_mov_b32_e32 v58, v19
	v_mov_b32_e32 v103, v59
	s_waitcnt lgkmcnt(0)
	v_pk_mul_f32 v[58:59], v[60:61], v[58:59] op_sel_hi:[1,0]
	s_nop 0
	v_pk_fma_f32 v[104:105], v[60:61], v[18:19], v[58:59] op_sel:[0,0,1] op_sel_hi:[1,1,0] neg_lo:[0,0,1] neg_hi:[0,0,1]
	v_pk_fma_f32 v[58:59], v[60:61], v[18:19], v[58:59] op_sel:[0,0,1] op_sel_hi:[1,0,0]
	v_pk_add_f32 v[60:61], v[74:75], v[66:67] neg_lo:[0,1] neg_hi:[0,1]
	v_mov_b32_e32 v105, v59
	v_pk_add_f32 v[58:59], v[62:63], v[100:101]
	v_pk_mul_f32 v[64:65], v[60:61], s[2:3] op_sel_hi:[1,0]
	v_pk_fma_f32 v[58:59], v[58:59], 0.5, v[46:47] op_sel_hi:[1,0,1] neg_lo:[1,0,0] neg_hi:[1,0,0]
	v_pk_add_f32 v[62:63], v[62:63], v[74:75] neg_lo:[0,1] neg_hi:[0,1]
	v_pk_add_f32 v[68:69], v[58:59], v[64:65] op_sel:[0,1] op_sel_hi:[1,0] neg_lo:[0,1] neg_hi:[0,1]
	v_pk_add_f32 v[58:59], v[58:59], v[64:65] op_sel:[0,1] op_sel_hi:[1,0]
	v_pk_add_f32 v[68:69], v[68:69], v[108:109] op_sel:[0,1] op_sel_hi:[1,0] neg_lo:[0,1] neg_hi:[0,1]
	v_pk_add_f32 v[64:65], v[108:109], v[58:59] op_sel:[1,0] op_sel_hi:[0,1]
	v_mov_b32_e32 v58, v64
	v_mov_b32_e32 v59, v69
	v_mov_b32_e32 v69, v65
	v_pk_add_f32 v[108:109], v[74:75], v[66:67]
	v_pk_add_f32 v[66:67], v[100:101], v[66:67] neg_lo:[0,1] neg_hi:[0,1]
	v_pk_fma_f32 v[58:59], v[44:45], s[14:15], v[58:59] op_sel_hi:[1,0,1]
	v_pk_fma_f32 v[64:65], v[44:45], s[14:15], v[68:69] op_sel_hi:[1,0,1]
	v_pk_add_f32 v[44:45], v[70:71], v[98:99]
	v_pk_fma_f32 v[46:47], v[108:109], 0.5, v[46:47] op_sel_hi:[1,0,1] neg_lo:[1,0,0] neg_hi:[1,0,0]
	v_pk_add_f32 v[62:63], v[62:63], v[66:67]
	v_pk_mul_f32 v[66:67], v[106:107], s[2:3] op_sel_hi:[1,0]
	v_pk_add_f32 v[44:45], v[44:45], v[72:73]
	v_pk_add_f32 v[74:75], v[66:67], v[46:47] op_sel:[1,0] op_sel_hi:[0,1]
	v_pk_mul_f32 v[60:61], v[60:61], s[10:11] op_sel_hi:[1,0]
	v_pk_add_f32 v[46:47], v[46:47], v[66:67] op_sel:[0,1] op_sel_hi:[1,0] neg_lo:[0,1] neg_hi:[0,1]
	v_pk_add_f32 v[44:45], v[44:45], v[102:103]
	v_pk_add_f32 v[74:75], v[74:75], v[60:61] op_sel:[0,1] op_sel_hi:[1,0] neg_lo:[0,1] neg_hi:[0,1]
	v_pk_add_f32 v[46:47], v[60:61], v[46:47] op_sel:[1,0] op_sel_hi:[0,1]
	v_pk_add_f32 v[66:67], v[44:45], v[104:105]
	v_pk_add_f32 v[44:45], v[72:73], v[102:103]
	v_mov_b32_e32 v60, v46
	v_mov_b32_e32 v61, v75
	;; [unrolled: 1-line block ×3, first 2 shown]
	v_pk_fma_f32 v[44:45], v[44:45], 0.5, v[70:71] op_sel_hi:[1,0,1] neg_lo:[1,0,0] neg_hi:[1,0,0]
	v_pk_add_f32 v[46:47], v[98:99], v[104:105] neg_lo:[0,1] neg_hi:[0,1]
	v_pk_add_f32 v[100:101], v[72:73], v[102:103] neg_lo:[0,1] neg_hi:[0,1]
	v_pk_fma_f32 v[68:69], v[46:47], s[2:3], v[44:45] op_sel:[1,0,0] op_sel_hi:[0,0,1]
	v_pk_fma_f32 v[44:45], v[46:47], s[2:3], v[44:45] op_sel:[1,0,0] op_sel_hi:[0,0,1] neg_lo:[1,0,0] neg_hi:[1,0,0]
	v_pk_fma_f32 v[60:61], v[62:63], s[14:15], v[60:61] op_sel_hi:[1,0,1]
	v_pk_fma_f32 v[62:63], v[62:63], s[14:15], v[74:75] op_sel_hi:[1,0,1]
	v_pk_fma_f32 v[44:45], v[100:101], s[10:11], v[44:45] op_sel:[1,0,0] op_sel_hi:[0,0,1] neg_lo:[1,0,0] neg_hi:[1,0,0]
	v_pk_fma_f32 v[74:75], v[100:101], s[10:11], v[68:69] op_sel:[1,0,0] op_sel_hi:[0,0,1]
	v_pk_add_f32 v[106:107], v[98:99], v[72:73] neg_lo:[0,1] neg_hi:[0,1]
	v_pk_add_f32 v[108:109], v[104:105], v[102:103] neg_lo:[0,1] neg_hi:[0,1]
	v_mov_b32_e32 v69, v45
	v_pk_add_f32 v[106:107], v[106:107], v[108:109]
	v_mov_b32_e32 v45, v75
	v_mov_b32_e32 v68, v74
	v_pk_fma_f32 v[74:75], v[106:107], s[14:15], v[44:45] op_sel_hi:[1,0,1]
	v_pk_add_f32 v[44:45], v[98:99], v[104:105]
	v_pk_add_f32 v[72:73], v[72:73], v[98:99] neg_lo:[0,1] neg_hi:[0,1]
	v_pk_fma_f32 v[44:45], v[44:45], 0.5, v[70:71] op_sel_hi:[1,0,1] neg_lo:[1,0,0] neg_hi:[1,0,0]
	v_pk_add_f32 v[98:99], v[102:103], v[104:105] neg_lo:[0,1] neg_hi:[0,1]
	v_pk_fma_f32 v[70:71], v[100:101], s[2:3], v[44:45] op_sel:[1,0,0] op_sel_hi:[0,0,1] neg_lo:[1,0,0] neg_hi:[1,0,0]
	v_pk_fma_f32 v[44:45], v[100:101], s[2:3], v[44:45] op_sel:[1,0,0] op_sel_hi:[0,0,1]
	v_pk_fma_f32 v[44:45], v[46:47], s[10:11], v[44:45] op_sel:[1,0,0] op_sel_hi:[0,0,1] neg_lo:[1,0,0] neg_hi:[1,0,0]
	v_pk_fma_f32 v[46:47], v[46:47], s[10:11], v[70:71] op_sel:[1,0,0] op_sel_hi:[0,0,1]
	v_mov_b32_e32 v70, v46
	v_mov_b32_e32 v71, v45
	v_pk_add_f32 v[72:73], v[72:73], v[98:99]
	v_mov_b32_e32 v45, v47
	v_pk_fma_f32 v[68:69], v[106:107], s[14:15], v[68:69] op_sel_hi:[1,0,1]
	v_pk_fma_f32 v[70:71], v[72:73], s[14:15], v[70:71] op_sel_hi:[1,0,1]
	;; [unrolled: 1-line block ×3, first 2 shown]
	v_add_u32_e32 v44, 0x800, v77
	v_add_u32_e32 v45, 0x400, v77
	ds_write_b64 v77, v[96:97]
	ds_write2_b64 v77, v[48:49], v[58:59] offset0:102 offset1:136
	ds_write2_b64 v44, v[52:53], v[62:63] offset0:50 offset1:84
	;; [unrolled: 1-line block ×7, first 2 shown]
	s_waitcnt lgkmcnt(0)
	s_barrier
	s_and_saveexec_b64 s[2:3], vcc
	s_cbranch_execz .LBB0_13
; %bb.12:
	global_load_dwordx2 v[98:99], v196, s[8:9] offset:4080
	ds_read_b64 v[46:47], v77
	s_add_u32 s10, s8, 0xff0
	s_addc_u32 s11, s9, 0
	s_waitcnt vmcnt(0) lgkmcnt(0)
	v_mul_f32_e32 v45, v47, v99
	v_mul_f32_e32 v101, v46, v99
	v_fma_f32 v100, v46, v98, -v45
	v_fmac_f32_e32 v101, v47, v98
	global_load_dwordx2 v[46:47], v196, s[10:11] offset:240
	ds_write_b64 v77, v[100:101]
	ds_read2_b64 v[98:101], v77 offset0:30 offset1:60
	s_waitcnt vmcnt(0) lgkmcnt(0)
	v_mul_f32_e32 v45, v99, v47
	v_mul_f32_e32 v103, v98, v47
	v_fma_f32 v102, v98, v46, -v45
	v_fmac_f32_e32 v103, v99, v46
	global_load_dwordx2 v[46:47], v196, s[10:11] offset:480
	s_waitcnt vmcnt(0)
	v_mul_f32_e32 v45, v101, v47
	v_mul_f32_e32 v99, v100, v47
	v_fma_f32 v98, v100, v46, -v45
	v_fmac_f32_e32 v99, v101, v46
	global_load_dwordx2 v[46:47], v196, s[10:11] offset:720
	ds_write2_b64 v77, v[102:103], v[98:99] offset0:30 offset1:60
	ds_read2_b64 v[98:101], v77 offset0:90 offset1:120
	s_waitcnt vmcnt(0) lgkmcnt(0)
	v_mul_f32_e32 v45, v99, v47
	v_mul_f32_e32 v103, v98, v47
	v_fma_f32 v102, v98, v46, -v45
	v_fmac_f32_e32 v103, v99, v46
	global_load_dwordx2 v[46:47], v196, s[10:11] offset:960
	s_waitcnt vmcnt(0)
	v_mul_f32_e32 v45, v101, v47
	v_mul_f32_e32 v99, v100, v47
	v_fma_f32 v98, v100, v46, -v45
	v_fmac_f32_e32 v99, v101, v46
	global_load_dwordx2 v[46:47], v196, s[10:11] offset:1200
	ds_write2_b64 v77, v[102:103], v[98:99] offset0:90 offset1:120
	;; [unrolled: 14-line block ×7, first 2 shown]
	ds_read2_b64 v[98:101], v44 offset0:194 offset1:224
	s_waitcnt vmcnt(0) lgkmcnt(0)
	v_mul_f32_e32 v45, v99, v47
	v_mul_f32_e32 v103, v98, v47
	v_fma_f32 v102, v98, v46, -v45
	v_fmac_f32_e32 v103, v99, v46
	global_load_dwordx2 v[46:47], v196, s[10:11] offset:3840
	s_waitcnt vmcnt(0)
	v_mul_f32_e32 v45, v101, v47
	v_mul_f32_e32 v99, v100, v47
	v_fma_f32 v98, v100, v46, -v45
	v_fmac_f32_e32 v99, v101, v46
	ds_write2_b64 v44, v[102:103], v[98:99] offset0:194 offset1:224
.LBB0_13:
	s_or_b64 exec, exec, s[2:3]
	s_waitcnt lgkmcnt(0)
	s_barrier
	s_and_saveexec_b64 s[2:3], vcc
	s_cbranch_execz .LBB0_15
; %bb.14:
	ds_read_b64 v[96:97], v77
	ds_read2_b64 v[48:51], v77 offset0:30 offset1:60
	ds_read2_b64 v[52:55], v77 offset0:90 offset1:120
	;; [unrolled: 1-line block ×4, first 2 shown]
	v_add_u32_e32 v20, 0x800, v77
	ds_read2_b64 v[64:67], v20 offset0:14 offset1:44
	ds_read2_b64 v[68:71], v20 offset0:74 offset1:104
	;; [unrolled: 1-line block ×4, first 2 shown]
.LBB0_15:
	s_or_b64 exec, exec, s[2:3]
	s_mov_b32 s30, 0x3f65296c
	s_waitcnt lgkmcnt(0)
	v_pk_add_f32 v[114:115], v[48:49], v[22:23] neg_lo:[0,1] neg_hi:[0,1]
	s_mov_b32 s31, 0x3ee437d1
	s_mov_b32 s56, 0xbf65296c
	v_pk_add_f32 v[112:113], v[22:23], v[48:49]
	s_mov_b32 s2, s31
	v_pk_mul_f32 v[44:45], v[114:115], s[56:57] op_sel_hi:[1,0]
	v_pk_add_f32 v[128:129], v[50:51], v[20:21]
	v_pk_fma_f32 v[148:149], v[112:113], s[2:3], v[44:45] op_sel:[0,0,1] op_sel_hi:[1,0,0] neg_lo:[0,0,1] neg_hi:[0,0,1]
	v_pk_fma_f32 v[130:131], v[112:113], s[2:3], v[44:45] op_sel:[0,0,1] op_sel_hi:[1,0,0]
	v_pk_add_f32 v[44:45], v[50:51], v[20:21] neg_lo:[0,1] neg_hi:[0,1]
	v_mov_b32_e32 v98, v128
	v_mov_b32_e32 v99, v44
	v_mov_b32_e32 v128, v45
	v_pk_add_f32 v[44:45], v[52:53], v[74:75] neg_lo:[0,1] neg_hi:[0,1]
	v_pk_add_f32 v[126:127], v[52:53], v[74:75]
	v_mov_b32_e32 v101, v44
	v_mov_b32_e32 v100, v126
	v_mov_b32_e32 v126, v45
	v_pk_add_f32 v[44:45], v[54:55], v[72:73] neg_lo:[0,1] neg_hi:[0,1]
	v_pk_add_f32 v[124:125], v[54:55], v[72:73]
	;; [unrolled: 5-line block ×6, first 2 shown]
	s_mov_b32 s48, 0xbf2c7751
	v_mov_b32_e32 v110, v116
	v_mov_b32_e32 v111, v44
	;; [unrolled: 1-line block ×5, first 2 shown]
	s_mov_b32 s49, 0x3f3d2fb0
	s_mov_b32 s46, 0xbf7ee86f
	v_pk_mul_f32 v[132:133], v[44:45], s[48:49]
	v_mov_b32_e32 v194, v112
	v_mov_b32_e32 v195, v114
	s_mov_b32 s2, s49
	s_mov_b32 s3, s48
	;; [unrolled: 1-line block ×3, first 2 shown]
	v_pk_fma_f32 v[44:45], v[194:195], s[2:3], v[132:133] neg_lo:[0,0,1] neg_hi:[0,0,1]
	v_pk_fma_f32 v[134:135], v[194:195], s[2:3], v[132:133]
	v_pk_mul_f32 v[136:137], v[128:129], s[46:47]
	s_mov_b32 s10, s47
	s_mov_b32 s11, s46
	s_mov_b32 s42, 0xbf4c4adb
	v_mov_b32_e32 v45, v135
	v_pk_fma_f32 v[46:47], v[98:99], s[10:11], v[136:137] neg_lo:[0,0,1] neg_hi:[0,0,1]
	v_pk_fma_f32 v[138:139], v[98:99], s[10:11], v[136:137]
	s_mov_b32 s43, 0xbf1a4643
	v_pk_add_f32 v[44:45], v[96:97], v[44:45]
	v_mov_b32_e32 v47, v139
	v_pk_mul_f32 v[140:141], v[126:127], s[42:43]
	s_mov_b32 s14, s43
	s_mov_b32 s15, s42
	s_mov_b32 s44, 0xbe3c28d5
	v_pk_add_f32 v[44:45], v[46:47], v[44:45]
	v_pk_fma_f32 v[46:47], v[100:101], s[14:15], v[140:141] neg_lo:[0,0,1] neg_hi:[0,0,1]
	v_pk_fma_f32 v[142:143], v[100:101], s[14:15], v[140:141]
	s_mov_b32 s45, 0xbf7ba420
	v_mov_b32_e32 v47, v143
	v_pk_mul_f32 v[144:145], v[124:125], s[44:45]
	s_mov_b32 s16, s45
	s_mov_b32 s17, s44
	s_mov_b32 s54, 0x3f06c442
	v_pk_add_f32 v[44:45], v[46:47], v[44:45]
	v_pk_fma_f32 v[46:47], v[102:103], s[16:17], v[144:145] neg_lo:[0,0,1] neg_hi:[0,0,1]
	v_pk_fma_f32 v[146:147], v[102:103], s[16:17], v[144:145]
	s_mov_b32 s55, 0xbf59a7d5
	;; [unrolled: 9-line block ×3, first 2 shown]
	v_mov_b32_e32 v47, v153
	v_pk_mul_f32 v[154:155], v[120:121], s[60:61]
	s_mov_b32 s18, s61
	s_mov_b32 s19, s60
	v_pk_add_f32 v[44:45], v[46:47], v[44:45]
	v_pk_fma_f32 v[46:47], v[106:107], s[18:19], v[154:155] neg_lo:[0,0,1] neg_hi:[0,0,1]
	v_pk_fma_f32 v[156:157], v[106:107], s[18:19], v[154:155]
	v_pk_mul_f32 v[158:159], v[118:119], s[30:31]
	v_mov_b32_e32 v47, v157
	s_mov_b32 s34, s31
	s_mov_b32 s35, s30
	;; [unrolled: 1-line block ×3, first 2 shown]
	v_pk_add_f32 v[44:45], v[46:47], v[44:45]
	v_pk_fma_f32 v[46:47], v[108:109], s[34:35], v[158:159] neg_lo:[0,0,1] neg_hi:[0,0,1]
	v_pk_fma_f32 v[160:161], v[108:109], s[34:35], v[158:159]
	s_mov_b32 s51, 0x3f6eb680
	v_mov_b32_e32 v47, v161
	v_pk_mul_f32 v[162:163], v[116:117], s[50:51]
	s_mov_b32 s20, s51
	s_mov_b32 s21, s50
	v_pk_add_f32 v[44:45], v[46:47], v[44:45]
	v_pk_fma_f32 v[46:47], v[110:111], s[20:21], v[162:163] neg_lo:[0,0,1] neg_hi:[0,0,1]
	v_pk_fma_f32 v[164:165], v[110:111], s[20:21], v[162:163]
	v_pk_mul_f32 v[168:169], v[128:129], s[42:43]
	v_mov_b32_e32 v47, v165
	v_pk_add_f32 v[46:47], v[46:47], v[44:45]
	v_mov_b32_e32 v44, v148
	v_mov_b32_e32 v45, v131
	v_pk_fma_f32 v[170:171], v[98:99], s[14:15], v[168:169] neg_lo:[0,0,1] neg_hi:[0,0,1]
	v_pk_fma_f32 v[166:167], v[98:99], s[14:15], v[168:169]
	v_pk_add_f32 v[44:45], v[96:97], v[44:45]
	v_mov_b32_e32 v171, v167
	s_mov_b32 s24, 0x3e3c28d5
	s_mov_b32 s25, s45
	v_pk_add_f32 v[44:45], v[170:171], v[44:45]
	v_pk_mul_f32 v[170:171], v[126:127], s[24:25]
	s_mov_b32 s38, s45
	s_mov_b32 s39, s24
	v_pk_fma_f32 v[174:175], v[100:101], s[38:39], v[170:171] neg_lo:[0,0,1] neg_hi:[0,0,1]
	v_pk_fma_f32 v[172:173], v[100:101], s[38:39], v[170:171]
	v_pk_mul_f32 v[176:177], v[124:125], s[60:61]
	v_mov_b32_e32 v175, v173
	v_pk_add_f32 v[44:45], v[174:175], v[44:45]
	v_pk_fma_f32 v[178:179], v[102:103], s[18:19], v[176:177] neg_lo:[0,0,1] neg_hi:[0,0,1]
	v_pk_fma_f32 v[174:175], v[102:103], s[18:19], v[176:177]
	s_mov_b32 s52, 0x3f2c7751
	v_mov_b32_e32 v179, v175
	s_mov_b32 s53, s49
	v_pk_add_f32 v[44:45], v[178:179], v[44:45]
	v_pk_mul_f32 v[178:179], v[122:123], s[52:53]
	s_mov_b32 s28, s49
	s_mov_b32 s29, s52
	v_pk_fma_f32 v[182:183], v[104:105], s[28:29], v[178:179] neg_lo:[0,0,1] neg_hi:[0,0,1]
	v_pk_fma_f32 v[180:181], v[104:105], s[28:29], v[178:179]
	s_mov_b32 s64, 0xbeb8f4ab
	v_mov_b32_e32 v183, v181
	s_mov_b32 s65, s51
	v_pk_add_f32 v[44:45], v[182:183], v[44:45]
	v_pk_mul_f32 v[182:183], v[120:121], s[64:65]
	s_mov_b32 s36, s51
	s_mov_b32 s37, s64
	v_pk_fma_f32 v[186:187], v[106:107], s[36:37], v[182:183] neg_lo:[0,0,1] neg_hi:[0,0,1]
	v_pk_fma_f32 v[184:185], v[106:107], s[36:37], v[182:183]
	v_pk_mul_f32 v[188:189], v[118:119], s[46:47]
	v_mov_b32_e32 v187, v185
	v_pk_add_f32 v[44:45], v[186:187], v[44:45]
	v_pk_fma_f32 v[190:191], v[108:109], s[10:11], v[188:189] neg_lo:[0,0,1] neg_hi:[0,0,1]
	v_pk_fma_f32 v[186:187], v[108:109], s[10:11], v[188:189]
	s_mov_b32 s58, 0xbf06c442
	v_mov_b32_e32 v191, v187
	s_mov_b32 s59, s55
	v_pk_add_f32 v[44:45], v[190:191], v[44:45]
	v_pk_mul_f32 v[190:191], v[116:117], s[58:59]
	s_mov_b32 s26, s55
	s_mov_b32 s27, s58
	v_pk_fma_f32 v[210:211], v[110:111], s[26:27], v[190:191] neg_lo:[0,0,1] neg_hi:[0,0,1]
	v_pk_fma_f32 v[192:193], v[110:111], s[26:27], v[190:191]
	s_nop 0
	v_mov_b32_e32 v211, v193
	v_pk_add_f32 v[44:45], v[210:211], v[44:45]
	s_barrier
	s_and_saveexec_b64 s[24:25], vcc
	s_cbranch_execz .LBB0_17
; %bb.16:
	v_pk_add_f32 v[48:49], v[48:49], v[96:97]
	v_pk_mul_f32 v[210:211], v[194:195], s[2:3]
	v_pk_add_f32 v[48:49], v[50:51], v[48:49]
	v_pk_add_f32 v[132:133], v[132:133], v[210:211] neg_lo:[0,1] neg_hi:[0,1]
	v_pk_add_f32 v[48:49], v[52:53], v[48:49]
	v_mov_b32_e32 v218, v212
	v_pk_add_f32 v[48:49], v[54:55], v[48:49]
	v_accvgpr_write_b32 a7, v213
	v_pk_add_f32 v[48:49], v[56:57], v[48:49]
	v_pk_mul_f32 v[212:213], v[98:99], s[10:11]
	v_pk_add_f32 v[48:49], v[58:59], v[48:49]
	v_mov_b32_e32 v135, v133
	v_pk_add_f32 v[48:49], v[60:61], v[48:49]
	v_accvgpr_write_b32 a8, v214
	v_pk_add_f32 v[48:49], v[62:63], v[48:49]
	v_accvgpr_write_b32 a9, v215
	v_pk_add_f32 v[48:49], v[64:65], v[48:49]
	v_pk_mul_f32 v[214:215], v[100:101], s[14:15]
	v_pk_add_f32 v[48:49], v[66:67], v[48:49]
	v_pk_add_f32 v[132:133], v[96:97], v[134:135]
	;; [unrolled: 1-line block ×3, first 2 shown]
	v_pk_add_f32 v[134:135], v[136:137], v[212:213] neg_lo:[0,1] neg_hi:[0,1]
	v_pk_add_f32 v[48:49], v[70:71], v[48:49]
	v_accvgpr_write_b32 a3, v204
	v_accvgpr_write_b32 a6, v205
	v_pk_mul_f32 v[204:205], v[102:103], s[16:17]
	v_accvgpr_write_b32 a4, v202
	v_pk_add_f32 v[48:49], v[72:73], v[48:49]
	v_mov_b32_e32 v139, v135
	v_pk_add_f32 v[134:135], v[140:141], v[214:215] neg_lo:[0,1] neg_hi:[0,1]
	v_accvgpr_write_b32 a5, v203
	v_pk_mul_f32 v[202:203], v[104:105], s[22:23]
	v_pk_add_f32 v[48:49], v[74:75], v[48:49]
	v_mov_b32_e32 v143, v135
	v_pk_add_f32 v[134:135], v[144:145], v[204:205] neg_lo:[0,1] neg_hi:[0,1]
	v_pk_mul_f32 v[220:221], v[106:107], s[18:19]
	v_pk_mul_f32 v[228:229], v[100:101], s[38:39]
	v_mov_b32_e32 v131, v149
	s_mov_b32 s38, s51
	v_pk_mul_f32 v[148:149], v[114:115], s[64:65] op_sel_hi:[1,0]
	v_pk_add_f32 v[20:21], v[20:21], v[48:49]
	v_mov_b32_e32 v147, v135
	v_pk_add_f32 v[134:135], v[150:151], v[202:203] neg_lo:[0,1] neg_hi:[0,1]
	v_accvgpr_write_b32 a2, v200
	v_accvgpr_write_b32 a1, v201
	v_pk_mul_f32 v[200:201], v[108:109], s[34:35]
	v_pk_add_f32 v[240:241], v[22:23], v[20:21]
	v_pk_fma_f32 v[48:49], v[112:113], s[38:39], v[148:149] op_sel:[0,0,1] op_sel_hi:[1,0,0]
	v_pk_fma_f32 v[22:23], v[112:113], s[38:39], v[148:149] op_sel:[0,0,1] op_sel_hi:[1,0,0] neg_lo:[0,0,1] neg_hi:[0,0,1]
	v_mov_b32_e32 v153, v135
	v_pk_add_f32 v[134:135], v[154:155], v[220:221] neg_lo:[0,1] neg_hi:[0,1]
	v_pk_mul_f32 v[224:225], v[110:111], s[20:21]
	v_accvgpr_write_b32 a11, v49
	v_mov_b32_e32 v49, v23
	v_mov_b32_e32 v157, v135
	v_pk_add_f32 v[134:135], v[158:159], v[200:201] neg_lo:[0,1] neg_hi:[0,1]
	v_pk_mul_f32 v[194:195], v[98:99], s[14:15]
	v_pk_add_f32 v[52:53], v[96:97], v[48:49]
	v_pk_mul_f32 v[48:49], v[128:129], s[48:49]
	v_mov_b32_e32 v161, v135
	v_pk_add_f32 v[134:135], v[162:163], v[224:225] neg_lo:[0,1] neg_hi:[0,1]
	v_accvgpr_write_b32 a14, v48
	s_mov_b32 s57, s31
	v_mov_b32_e32 v165, v135
	v_pk_add_f32 v[134:135], v[168:169], v[194:195] neg_lo:[0,1] neg_hi:[0,1]
	v_pk_mul_f32 v[82:83], v[102:103], s[18:19]
	v_pk_fma_f32 v[20:21], v[98:99], s[2:3], v[48:49]
	v_pk_fma_f32 v[54:55], v[98:99], s[2:3], v[48:49] neg_lo:[1,0,0] neg_hi:[1,0,0]
	v_accvgpr_write_b32 a15, v49
	v_pk_mul_f32 v[48:49], v[126:127], s[56:57]
	v_pk_add_f32 v[130:131], v[96:97], v[130:131]
	v_mov_b32_e32 v167, v135
	v_pk_add_f32 v[134:135], v[170:171], v[228:229] neg_lo:[0,1] neg_hi:[0,1]
	v_pk_mul_f32 v[232:233], v[104:105], s[28:29]
	s_mov_b32 s38, s31
	s_mov_b32 s39, s56
	v_accvgpr_write_b32 a20, v48
	v_pk_add_f32 v[132:133], v[138:139], v[132:133]
	v_pk_add_f32 v[130:131], v[166:167], v[130:131]
	v_mov_b32_e32 v173, v135
	v_pk_add_f32 v[134:135], v[176:177], v[82:83] neg_lo:[0,1] neg_hi:[0,1]
	v_pk_mul_f32 v[78:79], v[106:107], s[36:37]
	v_mov_b32_e32 v54, v20
	v_accvgpr_write_b32 a13, v21
	v_pk_fma_f32 v[20:21], v[100:101], s[38:39], v[48:49]
	v_pk_fma_f32 v[58:59], v[100:101], s[38:39], v[48:49] neg_lo:[1,0,0] neg_hi:[1,0,0]
	v_accvgpr_write_b32 a21, v49
	v_pk_mul_f32 v[48:49], v[124:125], s[46:47]
	s_mov_b32 s41, 0xbf763a35
	v_pk_add_f32 v[132:133], v[142:143], v[132:133]
	v_pk_add_f32 v[130:131], v[172:173], v[130:131]
	v_mov_b32_e32 v175, v135
	v_pk_add_f32 v[134:135], v[178:179], v[232:233] neg_lo:[0,1] neg_hi:[0,1]
	v_pk_mul_f32 v[236:237], v[108:109], s[10:11]
	v_accvgpr_write_b32 a22, v48
	s_mov_b32 s66, s41
	s_mov_b32 s67, s61
	v_pk_add_f32 v[132:133], v[146:147], v[132:133]
	v_pk_add_f32 v[130:131], v[174:175], v[130:131]
	v_mov_b32_e32 v181, v135
	v_pk_add_f32 v[134:135], v[182:183], v[78:79] neg_lo:[0,1] neg_hi:[0,1]
	v_pk_mul_f32 v[80:81], v[110:111], s[26:27]
	v_pk_add_f32 v[56:57], v[54:55], v[52:53]
	v_mov_b32_e32 v58, v20
	v_accvgpr_write_b32 a17, v21
	v_pk_fma_f32 v[20:21], v[102:103], s[10:11], v[48:49]
	v_pk_fma_f32 v[62:63], v[102:103], s[10:11], v[48:49] neg_lo:[1,0,0] neg_hi:[1,0,0]
	v_accvgpr_write_b32 a23, v49
	s_mov_b32 s40, s61
	v_pk_mul_f32 v[48:49], v[122:123], s[66:67]
	v_pk_add_f32 v[132:133], v[152:153], v[132:133]
	v_pk_add_f32 v[130:131], v[180:181], v[130:131]
	v_mov_b32_e32 v185, v135
	v_pk_add_f32 v[134:135], v[188:189], v[236:237] neg_lo:[0,1] neg_hi:[0,1]
	v_pk_add_f32 v[60:61], v[58:59], v[56:57]
	v_mov_b32_e32 v62, v20
	v_accvgpr_write_b32 a19, v21
	v_pk_fma_f32 v[20:21], v[104:105], s[40:41], v[48:49]
	v_pk_fma_f32 v[66:67], v[104:105], s[40:41], v[48:49] neg_lo:[1,0,0] neg_hi:[1,0,0]
	v_pk_add_f32 v[132:133], v[156:157], v[132:133]
	v_pk_add_f32 v[130:131], v[184:185], v[130:131]
	v_mov_b32_e32 v187, v135
	v_pk_add_f32 v[134:135], v[190:191], v[80:81] neg_lo:[0,1] neg_hi:[0,1]
	v_pk_add_f32 v[64:65], v[62:63], v[60:61]
	v_mov_b32_e32 v66, v20
	v_pk_add_f32 v[132:133], v[160:161], v[132:133]
	v_pk_add_f32 v[130:131], v[186:187], v[130:131]
	v_mov_b32_e32 v193, v135
	v_accvgpr_write_b32 a0, v196
	v_lshl_add_u32 v196, v198, 3, v199
	v_pk_add_f32 v[68:69], v[66:67], v[64:65]
	v_pk_mul_f32 v[66:67], v[120:121], s[42:43]
	v_pk_add_f32 v[132:133], v[164:165], v[132:133]
	v_pk_add_f32 v[130:131], v[192:193], v[130:131]
	v_pk_fma_f32 v[64:65], v[106:107], s[14:15], v[66:67]
	v_pk_fma_f32 v[70:71], v[106:107], s[14:15], v[66:67] neg_lo:[1,0,0] neg_hi:[1,0,0]
	ds_write2_b64 v196, v[132:133], v[130:131] offset0:2 offset1:3
	s_mov_b32 s62, s47
	v_pk_mul_f32 v[132:133], v[114:115], s[46:47] op_sel_hi:[1,0]
	v_mov_b32_e32 v70, v64
	v_pk_fma_f32 v[130:131], v[112:113], s[62:63], v[132:133] op_sel:[0,0,1] op_sel_hi:[1,0,0]
	v_pk_fma_f32 v[132:133], v[112:113], s[62:63], v[132:133] op_sel:[0,0,1] op_sel_hi:[1,0,0] neg_lo:[0,0,1] neg_hi:[0,0,1]
	v_pk_add_f32 v[72:73], v[70:71], v[68:69]
	v_pk_mul_f32 v[70:71], v[118:119], s[58:59]
	v_mov_b32_e32 v134, v130
	v_mov_b32_e32 v135, v133
	v_pk_mul_f32 v[136:137], v[128:129], s[44:45]
	v_pk_fma_f32 v[68:69], v[108:109], s[26:27], v[70:71]
	v_pk_fma_f32 v[74:75], v[108:109], s[26:27], v[70:71] neg_lo:[1,0,0] neg_hi:[1,0,0]
	v_pk_add_f32 v[138:139], v[96:97], v[134:135]
	v_pk_fma_f32 v[134:135], v[98:99], s[16:17], v[136:137]
	v_pk_fma_f32 v[140:141], v[98:99], s[16:17], v[136:137] neg_lo:[1,0,0] neg_hi:[1,0,0]
	v_mov_b32_e32 v74, v68
	v_mov_b32_e32 v140, v134
	v_pk_add_f32 v[148:149], v[74:75], v[72:73]
	v_pk_mul_f32 v[74:75], v[116:117], s[44:45]
	v_pk_add_f32 v[142:143], v[140:141], v[138:139]
	v_pk_mul_f32 v[140:141], v[126:127], s[60:61]
	v_pk_fma_f32 v[72:73], v[110:111], s[16:17], v[74:75]
	v_pk_fma_f32 v[242:243], v[110:111], s[16:17], v[74:75] neg_lo:[1,0,0] neg_hi:[1,0,0]
	v_pk_fma_f32 v[138:139], v[100:101], s[18:19], v[140:141]
	v_pk_fma_f32 v[144:145], v[100:101], s[18:19], v[140:141] neg_lo:[1,0,0] neg_hi:[1,0,0]
	v_mov_b32_e32 v242, v72
	v_mov_b32_e32 v144, v138
	v_pk_add_f32 v[148:149], v[242:243], v[148:149]
	v_pk_add_f32 v[146:147], v[144:145], v[142:143]
	v_pk_mul_f32 v[144:145], v[124:125], s[50:51]
	ds_write2_b64 v196, v[240:241], v[148:149] offset1:1
	v_pk_fma_f32 v[142:143], v[102:103], s[20:21], v[144:145]
	v_pk_fma_f32 v[148:149], v[102:103], s[20:21], v[144:145] neg_lo:[1,0,0] neg_hi:[1,0,0]
	s_mov_b32 s68, s41
	v_mov_b32_e32 v148, v142
	v_pk_add_f32 v[150:151], v[148:149], v[146:147]
	v_pk_mul_f32 v[148:149], v[122:123], s[56:57]
	s_mov_b32 s72, s61
	v_pk_mul_f32 v[178:179], v[114:115], s[68:69] op_sel_hi:[1,0]
	v_pk_fma_f32 v[146:147], v[104:105], s[38:39], v[148:149]
	v_pk_fma_f32 v[152:153], v[104:105], s[38:39], v[148:149] neg_lo:[1,0,0] neg_hi:[1,0,0]
	v_pk_fma_f32 v[176:177], v[112:113], s[72:73], v[178:179] op_sel:[0,0,1] op_sel_hi:[1,0,0]
	v_pk_fma_f32 v[178:179], v[112:113], s[72:73], v[178:179] op_sel:[0,0,1] op_sel_hi:[1,0,0] neg_lo:[0,0,1] neg_hi:[0,0,1]
	v_mov_b32_e32 v152, v146
	v_pk_mul_f32 v[174:175], v[128:129], s[54:55]
	v_mov_b32_e32 v180, v176
	v_mov_b32_e32 v181, v179
	v_pk_add_f32 v[154:155], v[152:153], v[150:151]
	v_pk_mul_f32 v[152:153], v[120:121], s[58:59]
	v_pk_add_f32 v[182:183], v[96:97], v[180:181]
	v_pk_fma_f32 v[180:181], v[98:99], s[22:23], v[174:175]
	v_pk_fma_f32 v[184:185], v[98:99], s[22:23], v[174:175] neg_lo:[1,0,0] neg_hi:[1,0,0]
	v_pk_fma_f32 v[150:151], v[106:107], s[26:27], v[152:153]
	v_pk_fma_f32 v[156:157], v[106:107], s[26:27], v[152:153] neg_lo:[1,0,0] neg_hi:[1,0,0]
	s_mov_b32 s63, 0x3f4c4adb
	v_pk_mul_f32 v[172:173], v[126:127], s[52:53]
	v_mov_b32_e32 v184, v180
	v_mov_b32_e32 v156, v150
	s_mov_b32 s70, s63
	s_mov_b32 s71, s43
	v_pk_add_f32 v[184:185], v[184:185], v[182:183]
	v_pk_fma_f32 v[182:183], v[100:101], s[28:29], v[172:173]
	v_pk_fma_f32 v[186:187], v[100:101], s[28:29], v[172:173] neg_lo:[1,0,0] neg_hi:[1,0,0]
	v_pk_add_f32 v[158:159], v[156:157], v[154:155]
	s_mov_b32 s62, s43
	v_pk_mul_f32 v[156:157], v[118:119], s[70:71]
	v_pk_mul_f32 v[170:171], v[124:125], s[56:57]
	v_mov_b32_e32 v186, v182
	v_pk_fma_f32 v[154:155], v[108:109], s[62:63], v[156:157]
	v_pk_fma_f32 v[160:161], v[108:109], s[62:63], v[156:157] neg_lo:[1,0,0] neg_hi:[1,0,0]
	v_pk_add_f32 v[186:187], v[186:187], v[184:185]
	v_pk_fma_f32 v[184:185], v[102:103], s[38:39], v[170:171]
	v_pk_fma_f32 v[188:189], v[102:103], s[38:39], v[170:171] neg_lo:[1,0,0] neg_hi:[1,0,0]
	v_mov_b32_e32 v160, v154
	v_pk_mul_f32 v[166:167], v[122:123], s[44:45]
	s_mov_b32 s57, 0x3f7ee86f
	v_mov_b32_e32 v188, v184
	v_pk_add_f32 v[162:163], v[160:161], v[158:159]
	v_pk_mul_f32 v[160:161], v[116:117], s[52:53]
	s_mov_b32 s68, s57
	s_mov_b32 s69, s47
	v_pk_add_f32 v[188:189], v[188:189], v[186:187]
	v_pk_fma_f32 v[186:187], v[104:105], s[16:17], v[166:167]
	v_pk_fma_f32 v[190:191], v[104:105], s[16:17], v[166:167] neg_lo:[1,0,0] neg_hi:[1,0,0]
	v_pk_fma_f32 v[158:159], v[110:111], s[28:29], v[160:161]
	v_pk_fma_f32 v[164:165], v[110:111], s[28:29], v[160:161] neg_lo:[1,0,0] neg_hi:[1,0,0]
	s_mov_b32 s56, s47
	v_pk_mul_f32 v[168:169], v[120:121], s[68:69]
	v_mov_b32_e32 v190, v186
	v_mov_b32_e32 v164, v158
	v_pk_add_f32 v[190:191], v[190:191], v[188:189]
	v_pk_fma_f32 v[188:189], v[106:107], s[56:57], v[168:169]
	v_pk_fma_f32 v[192:193], v[106:107], s[56:57], v[168:169] neg_lo:[1,0,0] neg_hi:[1,0,0]
	v_pk_add_f32 v[210:211], v[164:165], v[162:163]
	v_pk_mul_f32 v[164:165], v[118:119], s[64:65]
	v_mov_b32_e32 v192, v188
	v_pk_add_f32 v[192:193], v[192:193], v[190:191]
	v_pk_fma_f32 v[190:191], v[108:109], s[36:37], v[164:165]
	v_pk_fma_f32 v[212:213], v[108:109], s[36:37], v[164:165] neg_lo:[1,0,0] neg_hi:[1,0,0]
	v_pk_mul_f32 v[162:163], v[116:117], s[42:43]
	v_mov_b32_e32 v212, v190
	v_pk_add_f32 v[212:213], v[212:213], v[192:193]
	v_pk_fma_f32 v[192:193], v[110:111], s[14:15], v[162:163]
	v_pk_fma_f32 v[214:215], v[110:111], s[14:15], v[162:163] neg_lo:[1,0,0] neg_hi:[1,0,0]
	v_accvgpr_write_b32 a26, v48
	v_mov_b32_e32 v214, v192
	v_pk_add_f32 v[212:213], v[214:215], v[212:213]
	ds_write2_b64 v196, v[210:211], v[212:213] offset0:4 offset1:5
	s_mov_b32 s54, s43
	v_pk_mul_f32 v[210:211], v[114:115], s[42:43] op_sel_hi:[1,0]
	v_accvgpr_write_b32 a27, v49
	v_pk_fma_f32 v[212:213], v[112:113], s[54:55], v[210:211] op_sel:[0,0,1] op_sel_hi:[1,0,0]
	v_pk_fma_f32 v[210:211], v[112:113], s[54:55], v[210:211] op_sel:[0,0,1] op_sel_hi:[1,0,0] neg_lo:[0,0,1] neg_hi:[0,0,1]
	v_pk_mul_f32 v[48:49], v[128:129], s[60:61]
	v_mov_b32_e32 v214, v212
	v_mov_b32_e32 v215, v211
	v_pk_fma_f32 v[62:63], v[98:99], s[18:19], v[48:49]
	v_pk_fma_f32 v[220:221], v[98:99], s[18:19], v[48:49] neg_lo:[1,0,0] neg_hi:[1,0,0]
	v_pk_add_f32 v[214:215], v[96:97], v[214:215]
	v_mov_b32_e32 v220, v62
	v_pk_add_f32 v[214:215], v[220:221], v[214:215]
	v_pk_mul_f32 v[220:221], v[126:127], s[64:65]
	v_pk_mul_f32 v[246:247], v[128:129], s[30:31]
	v_pk_fma_f32 v[60:61], v[100:101], s[36:37], v[220:221]
	v_pk_fma_f32 v[224:225], v[100:101], s[36:37], v[220:221] neg_lo:[1,0,0] neg_hi:[1,0,0]
	v_mov_b32_e32 v20, v206
	v_mov_b32_e32 v224, v60
	v_pk_add_f32 v[214:215], v[224:225], v[214:215]
	v_pk_mul_f32 v[224:225], v[124:125], s[58:59]
	v_pk_fma_f32 v[202:203], v[98:99], s[34:35], v[246:247] neg_lo:[1,0,0] neg_hi:[1,0,0]
	v_pk_fma_f32 v[58:59], v[102:103], s[26:27], v[224:225]
	v_pk_fma_f32 v[228:229], v[102:103], s[26:27], v[224:225] neg_lo:[1,0,0] neg_hi:[1,0,0]
	v_pk_mul_f32 v[248:249], v[126:127], s[46:47]
	v_mov_b32_e32 v228, v58
	v_pk_add_f32 v[214:215], v[228:229], v[214:215]
	v_pk_mul_f32 v[228:229], v[122:123], s[68:69]
	v_accvgpr_write_b32 a25, v21
	v_pk_fma_f32 v[56:57], v[104:105], s[56:57], v[228:229]
	v_pk_fma_f32 v[232:233], v[104:105], s[56:57], v[228:229] neg_lo:[1,0,0] neg_hi:[1,0,0]
	v_pk_mul_f32 v[250:251], v[124:125], s[70:71]
	v_mov_b32_e32 v232, v56
	v_pk_add_f32 v[214:215], v[232:233], v[214:215]
	v_pk_mul_f32 v[232:233], v[120:121], s[48:49]
	s_mov_b32 s48, s55
	v_pk_fma_f32 v[54:55], v[106:107], s[2:3], v[232:233]
	v_pk_fma_f32 v[236:237], v[106:107], s[2:3], v[232:233] neg_lo:[1,0,0] neg_hi:[1,0,0]
	v_mov_b32_e32 v56, v209
	v_mov_b32_e32 v236, v54
	v_pk_add_f32 v[214:215], v[236:237], v[214:215]
	v_pk_mul_f32 v[236:237], v[118:119], s[44:45]
	v_mov_b32_e32 v54, v208
	v_pk_fma_f32 v[52:53], v[108:109], s[16:17], v[236:237]
	v_pk_fma_f32 v[240:241], v[108:109], s[16:17], v[236:237] neg_lo:[1,0,0] neg_hi:[1,0,0]
	v_pk_fma_f32 v[80:81], v[102:103], s[62:63], v[250:251]
	v_mov_b32_e32 v240, v52
	v_pk_add_f32 v[214:215], v[240:241], v[214:215]
	v_pk_mul_f32 v[240:241], v[116:117], s[30:31]
	v_mov_b32_e32 v52, v207
	v_pk_fma_f32 v[242:243], v[110:111], s[34:35], v[240:241]
	v_pk_fma_f32 v[244:245], v[110:111], s[34:35], v[240:241] neg_lo:[1,0,0] neg_hi:[1,0,0]
	v_pk_fma_f32 v[206:207], v[98:99], s[34:35], v[246:247]
	v_mov_b32_e32 v244, v242
	v_pk_add_f32 v[214:215], v[244:245], v[214:215]
	v_pk_mul_f32 v[244:245], v[114:115], s[58:59] op_sel_hi:[1,0]
	v_mov_b32_e32 v202, v206
	v_pk_fma_f32 v[200:201], v[112:113], s[48:49], v[244:245] op_sel:[0,0,1] op_sel_hi:[1,0,0]
	v_pk_fma_f32 v[244:245], v[112:113], s[48:49], v[244:245] op_sel:[0,0,1] op_sel_hi:[1,0,0] neg_lo:[0,0,1] neg_hi:[0,0,1]
	v_mov_b32_e32 v208, v200
	v_mov_b32_e32 v209, v245
	v_pk_add_f32 v[208:209], v[96:97], v[208:209]
	v_mov_b32_e32 v206, v20
	v_pk_add_f32 v[202:203], v[202:203], v[208:209]
	v_pk_fma_f32 v[20:21], v[100:101], s[10:11], v[248:249]
	v_pk_fma_f32 v[208:209], v[100:101], s[10:11], v[248:249] neg_lo:[1,0,0] neg_hi:[1,0,0]
	v_pk_mul_f32 v[252:253], v[122:123], s[64:65]
	v_mov_b32_e32 v208, v20
	v_pk_add_f32 v[202:203], v[208:209], v[202:203]
	v_pk_fma_f32 v[208:209], v[102:103], s[62:63], v[250:251] neg_lo:[1,0,0] neg_hi:[1,0,0]
	v_pk_fma_f32 v[78:79], v[104:105], s[36:37], v[252:253]
	v_mov_b32_e32 v208, v80
	v_pk_add_f32 v[202:203], v[208:209], v[202:203]
	v_pk_fma_f32 v[208:209], v[104:105], s[36:37], v[252:253] neg_lo:[1,0,0] neg_hi:[1,0,0]
	v_pk_mul_f32 v[254:255], v[120:121], s[44:45]
	v_mov_b32_e32 v208, v78
	v_pk_add_f32 v[202:203], v[208:209], v[202:203]
	v_pk_fma_f32 v[234:235], v[106:107], s[16:17], v[254:255]
	v_pk_fma_f32 v[208:209], v[106:107], s[16:17], v[254:255] neg_lo:[1,0,0] neg_hi:[1,0,0]
	v_mov_b32_e32 v23, v199
	v_pk_mul_f32 v[198:199], v[118:119], s[52:53]
	v_mov_b32_e32 v208, v234
	v_pk_add_f32 v[202:203], v[208:209], v[202:203]
	v_pk_fma_f32 v[194:195], v[108:109], s[28:29], v[198:199]
	v_pk_fma_f32 v[208:209], v[108:109], s[28:29], v[198:199] neg_lo:[1,0,0] neg_hi:[1,0,0]
	v_pk_mul_f32 v[204:205], v[116:117], s[66:67]
	v_mov_b32_e32 v208, v194
	v_pk_add_f32 v[202:203], v[208:209], v[202:203]
	v_pk_fma_f32 v[50:51], v[110:111], s[40:41], v[204:205]
	v_pk_fma_f32 v[208:209], v[110:111], s[40:41], v[204:205] neg_lo:[1,0,0] neg_hi:[1,0,0]
	s_mov_b32 s46, s45
	v_mov_b32_e32 v208, v50
	v_pk_add_f32 v[202:203], v[208:209], v[202:203]
	v_pk_mul_f32 v[114:115], v[114:115], s[44:45] op_sel_hi:[1,0]
	ds_write2_b64 v196, v[214:215], v[202:203] offset0:6 offset1:7
	v_pk_fma_f32 v[202:203], v[112:113], s[46:47], v[114:115] op_sel:[0,0,1] op_sel_hi:[1,0,0]
	v_pk_fma_f32 v[112:113], v[112:113], s[46:47], v[114:115] op_sel:[0,0,1] op_sel_hi:[1,0,0] neg_lo:[0,0,1] neg_hi:[0,0,1]
	v_pk_mul_f32 v[128:129], v[128:129], s[50:51]
	v_mov_b32_e32 v114, v202
	v_mov_b32_e32 v115, v113
	v_pk_fma_f32 v[208:209], v[98:99], s[20:21], v[128:129]
	v_pk_fma_f32 v[214:215], v[98:99], s[20:21], v[128:129] neg_lo:[1,0,0] neg_hi:[1,0,0]
	v_pk_add_f32 v[114:115], v[96:97], v[114:115]
	v_mov_b32_e32 v214, v208
	v_pk_mul_f32 v[126:127], v[126:127], s[58:59]
	v_mov_b32_e32 v113, v203
	v_pk_fma_f32 v[128:129], v[98:99], s[20:21], v[128:129] neg_lo:[0,0,1] neg_hi:[0,0,1]
	v_pk_add_f32 v[114:115], v[214:215], v[114:115]
	v_pk_fma_f32 v[82:83], v[100:101], s[26:27], v[126:127]
	v_pk_fma_f32 v[214:215], v[100:101], s[26:27], v[126:127] neg_lo:[1,0,0] neg_hi:[1,0,0]
	v_pk_add_f32 v[112:113], v[96:97], v[112:113]
	v_mov_b32_e32 v129, v209
	v_pk_fma_f32 v[126:127], v[100:101], s[26:27], v[126:127] neg_lo:[0,0,1] neg_hi:[0,0,1]
	v_mov_b32_e32 v214, v82
	v_pk_mul_f32 v[124:125], v[124:125], s[52:53]
	v_pk_add_f32 v[112:113], v[128:129], v[112:113]
	v_mov_b32_e32 v127, v83
	v_pk_add_f32 v[114:115], v[214:215], v[114:115]
	v_pk_fma_f32 v[238:239], v[102:103], s[28:29], v[124:125]
	v_pk_fma_f32 v[214:215], v[102:103], s[28:29], v[124:125] neg_lo:[1,0,0] neg_hi:[1,0,0]
	v_pk_add_f32 v[82:83], v[126:127], v[112:113]
	v_pk_fma_f32 v[112:113], v[102:103], s[28:29], v[124:125] neg_lo:[0,0,1] neg_hi:[0,0,1]
	v_mov_b32_e32 v214, v238
	v_pk_mul_f32 v[122:123], v[122:123], s[42:43]
	v_mov_b32_e32 v113, v239
	v_pk_add_f32 v[114:115], v[214:215], v[114:115]
	v_pk_fma_f32 v[230:231], v[104:105], s[14:15], v[122:123]
	v_pk_fma_f32 v[214:215], v[104:105], s[14:15], v[122:123] neg_lo:[1,0,0] neg_hi:[1,0,0]
	v_pk_add_f32 v[82:83], v[112:113], v[82:83]
	v_pk_fma_f32 v[112:113], v[104:105], s[14:15], v[122:123] neg_lo:[0,0,1] neg_hi:[0,0,1]
	v_mov_b32_e32 v214, v230
	v_pk_mul_f32 v[120:121], v[120:121], s[30:31]
	;; [unrolled: 8-line block ×4, first 2 shown]
	v_mov_b32_e32 v113, v223
	v_mov_b32_e32 v212, v218
	v_pk_add_f32 v[114:115], v[214:215], v[114:115]
	v_pk_fma_f32 v[218:219], v[110:111], s[56:57], v[116:117]
	v_pk_fma_f32 v[214:215], v[110:111], s[56:57], v[116:117] neg_lo:[1,0,0] neg_hi:[1,0,0]
	v_pk_add_f32 v[82:83], v[112:113], v[82:83]
	v_pk_fma_f32 v[112:113], v[110:111], s[56:57], v[116:117] neg_lo:[0,0,1] neg_hi:[0,0,1]
	v_mov_b32_e32 v214, v218
	v_mov_b32_e32 v113, v219
	v_pk_add_f32 v[114:115], v[214:215], v[114:115]
	v_pk_add_f32 v[82:83], v[112:113], v[82:83]
	v_mov_b32_e32 v245, v201
	v_pk_fma_f32 v[112:113], v[98:99], s[34:35], v[246:247] neg_lo:[0,0,1] neg_hi:[0,0,1]
	ds_write2_b64 v196, v[114:115], v[82:83] offset0:8 offset1:9
	v_pk_add_f32 v[82:83], v[96:97], v[244:245]
	v_mov_b32_e32 v113, v207
	v_pk_add_f32 v[82:83], v[112:113], v[82:83]
	v_pk_fma_f32 v[112:113], v[100:101], s[10:11], v[248:249] neg_lo:[0,0,1] neg_hi:[0,0,1]
	v_mov_b32_e32 v211, v213
	v_mov_b32_e32 v113, v21
	v_pk_add_f32 v[20:21], v[112:113], v[82:83]
	v_pk_fma_f32 v[82:83], v[102:103], s[62:63], v[250:251] neg_lo:[0,0,1] neg_hi:[0,0,1]
	v_pk_fma_f32 v[48:49], v[98:99], s[18:19], v[48:49] neg_lo:[0,0,1] neg_hi:[0,0,1]
	v_mov_b32_e32 v83, v81
	v_pk_fma_f32 v[80:81], v[104:105], s[36:37], v[252:253] neg_lo:[0,0,1] neg_hi:[0,0,1]
	v_pk_add_f32 v[20:21], v[82:83], v[20:21]
	v_mov_b32_e32 v81, v79
	v_pk_fma_f32 v[78:79], v[106:107], s[16:17], v[254:255] neg_lo:[0,0,1] neg_hi:[0,0,1]
	v_pk_add_f32 v[20:21], v[80:81], v[20:21]
	v_mov_b32_e32 v79, v235
	v_pk_add_f32 v[20:21], v[78:79], v[20:21]
	v_pk_fma_f32 v[78:79], v[108:109], s[28:29], v[198:199] neg_lo:[0,0,1] neg_hi:[0,0,1]
	v_mov_b32_e32 v49, v63
	v_mov_b32_e32 v79, v195
	v_pk_add_f32 v[20:21], v[78:79], v[20:21]
	v_pk_fma_f32 v[78:79], v[110:111], s[40:41], v[204:205] neg_lo:[0,0,1] neg_hi:[0,0,1]
	v_mov_b32_e32 v179, v177
	v_mov_b32_e32 v79, v51
	v_pk_add_f32 v[50:51], v[96:97], v[210:211]
	v_pk_add_f32 v[20:21], v[78:79], v[20:21]
	;; [unrolled: 1-line block ×3, first 2 shown]
	v_pk_fma_f32 v[50:51], v[100:101], s[36:37], v[220:221] neg_lo:[0,0,1] neg_hi:[0,0,1]
	v_mov_b32_e32 v133, v131
	v_mov_b32_e32 v51, v61
	v_pk_add_f32 v[48:49], v[50:51], v[48:49]
	v_pk_fma_f32 v[50:51], v[102:103], s[26:27], v[224:225] neg_lo:[0,0,1] neg_hi:[0,0,1]
	v_mov_b32_e32 v199, v23
	v_mov_b32_e32 v51, v59
	v_pk_add_f32 v[48:49], v[50:51], v[48:49]
	v_pk_fma_f32 v[50:51], v[104:105], s[56:57], v[228:229] neg_lo:[0,0,1] neg_hi:[0,0,1]
	v_accvgpr_read_b32 v23, a11
	v_mov_b32_e32 v51, v57
	v_pk_add_f32 v[48:49], v[50:51], v[48:49]
	v_pk_fma_f32 v[50:51], v[106:107], s[2:3], v[232:233] neg_lo:[0,0,1] neg_hi:[0,0,1]
	v_accvgpr_read_b32 v203, a5
	v_mov_b32_e32 v51, v55
	v_pk_add_f32 v[48:49], v[50:51], v[48:49]
	v_pk_fma_f32 v[50:51], v[108:109], s[16:17], v[236:237] neg_lo:[0,0,1] neg_hi:[0,0,1]
	v_mov_b32_e32 v208, v54
	v_mov_b32_e32 v51, v53
	v_pk_add_f32 v[48:49], v[50:51], v[48:49]
	v_pk_fma_f32 v[50:51], v[110:111], s[34:35], v[240:241] neg_lo:[0,0,1] neg_hi:[0,0,1]
	v_accvgpr_read_b32 v215, a9
	v_mov_b32_e32 v51, v243
	v_pk_add_f32 v[48:49], v[50:51], v[48:49]
	ds_write2_b64 v196, v[20:21], v[48:49] offset0:10 offset1:11
	v_pk_fma_f32 v[48:49], v[98:99], s[22:23], v[174:175] neg_lo:[0,0,1] neg_hi:[0,0,1]
	v_pk_add_f32 v[20:21], v[96:97], v[178:179]
	v_mov_b32_e32 v49, v181
	v_pk_add_f32 v[20:21], v[48:49], v[20:21]
	v_pk_fma_f32 v[48:49], v[100:101], s[28:29], v[172:173] neg_lo:[0,0,1] neg_hi:[0,0,1]
	v_pk_fma_f32 v[50:51], v[98:99], s[16:17], v[136:137] neg_lo:[0,0,1] neg_hi:[0,0,1]
	v_mov_b32_e32 v49, v183
	v_pk_add_f32 v[20:21], v[48:49], v[20:21]
	v_pk_fma_f32 v[48:49], v[102:103], s[38:39], v[170:171] neg_lo:[0,0,1] neg_hi:[0,0,1]
	v_mov_b32_e32 v51, v135
	v_mov_b32_e32 v49, v185
	v_pk_add_f32 v[20:21], v[48:49], v[20:21]
	v_pk_fma_f32 v[48:49], v[104:105], s[16:17], v[166:167] neg_lo:[0,0,1] neg_hi:[0,0,1]
	v_accvgpr_read_b32 v214, a8
	v_mov_b32_e32 v49, v187
	v_pk_add_f32 v[20:21], v[48:49], v[20:21]
	v_pk_fma_f32 v[48:49], v[106:107], s[56:57], v[168:169] neg_lo:[0,0,1] neg_hi:[0,0,1]
	v_accvgpr_read_b32 v202, a4
	v_mov_b32_e32 v49, v189
	v_pk_add_f32 v[20:21], v[48:49], v[20:21]
	v_pk_fma_f32 v[48:49], v[108:109], s[36:37], v[164:165] neg_lo:[0,0,1] neg_hi:[0,0,1]
	v_mov_b32_e32 v209, v56
	v_mov_b32_e32 v49, v191
	v_pk_add_f32 v[20:21], v[48:49], v[20:21]
	v_pk_fma_f32 v[48:49], v[110:111], s[14:15], v[162:163] neg_lo:[0,0,1] neg_hi:[0,0,1]
	v_accvgpr_read_b32 v201, a1
	v_mov_b32_e32 v49, v193
	v_pk_add_f32 v[20:21], v[48:49], v[20:21]
	v_pk_add_f32 v[48:49], v[96:97], v[132:133]
	v_accvgpr_read_b32 v200, a2
	v_pk_add_f32 v[48:49], v[50:51], v[48:49]
	v_pk_fma_f32 v[50:51], v[100:101], s[18:19], v[140:141] neg_lo:[0,0,1] neg_hi:[0,0,1]
	v_mov_b32_e32 v207, v52
	v_mov_b32_e32 v51, v139
	v_pk_add_f32 v[48:49], v[50:51], v[48:49]
	v_pk_fma_f32 v[50:51], v[102:103], s[20:21], v[144:145] neg_lo:[0,0,1] neg_hi:[0,0,1]
	v_accvgpr_read_b32 v205, a6
	v_mov_b32_e32 v51, v143
	v_pk_add_f32 v[48:49], v[50:51], v[48:49]
	v_pk_fma_f32 v[50:51], v[104:105], s[38:39], v[148:149] neg_lo:[0,0,1] neg_hi:[0,0,1]
	v_accvgpr_read_b32 v204, a3
	;; [unrolled: 4-line block ×3, first 2 shown]
	v_mov_b32_e32 v51, v151
	v_pk_add_f32 v[48:49], v[50:51], v[48:49]
	v_pk_fma_f32 v[50:51], v[108:109], s[62:63], v[156:157] neg_lo:[0,0,1] neg_hi:[0,0,1]
	s_nop 0
	v_mov_b32_e32 v51, v155
	v_pk_add_f32 v[48:49], v[50:51], v[48:49]
	v_pk_fma_f32 v[50:51], v[110:111], s[28:29], v[160:161] neg_lo:[0,0,1] neg_hi:[0,0,1]
	s_nop 0
	v_mov_b32_e32 v51, v159
	v_pk_add_f32 v[48:49], v[50:51], v[48:49]
	ds_write2_b64 v196, v[20:21], v[48:49] offset0:12 offset1:13
	ds_write2_b64 v196, v[44:45], v[46:47] offset0:14 offset1:15
	v_pk_add_f32 v[20:21], v[96:97], v[22:23]
	v_accvgpr_read_b32 v23, a15
	v_accvgpr_read_b32 v22, a14
	v_pk_fma_f32 v[22:23], v[98:99], s[2:3], v[22:23] neg_lo:[0,0,1] neg_hi:[0,0,1]
	s_nop 0
	v_accvgpr_read_b32 v23, a13
	v_pk_add_f32 v[20:21], v[22:23], v[20:21]
	v_accvgpr_read_b32 v23, a21
	v_accvgpr_read_b32 v22, a20
	v_pk_fma_f32 v[22:23], v[100:101], s[38:39], v[22:23] neg_lo:[0,0,1] neg_hi:[0,0,1]
	s_nop 0
	v_accvgpr_read_b32 v23, a17
	;; [unrolled: 6-line block ×4, first 2 shown]
	v_pk_add_f32 v[20:21], v[22:23], v[20:21]
	v_pk_fma_f32 v[22:23], v[106:107], s[14:15], v[66:67] neg_lo:[0,0,1] neg_hi:[0,0,1]
	s_nop 0
	v_mov_b32_e32 v23, v65
	v_pk_add_f32 v[20:21], v[22:23], v[20:21]
	v_pk_fma_f32 v[22:23], v[108:109], s[26:27], v[70:71] neg_lo:[0,0,1] neg_hi:[0,0,1]
	s_nop 0
	v_mov_b32_e32 v23, v69
	;; [unrolled: 4-line block ×3, first 2 shown]
	v_pk_add_f32 v[20:21], v[22:23], v[20:21]
	ds_write_b64 v196, v[20:21] offset:128
	v_accvgpr_read_b32 v196, a0
.LBB0_17:
	s_or_b64 exec, exec, s[24:25]
	v_add_u32_e32 v48, 0x800, v197
	s_waitcnt lgkmcnt(0)
	s_barrier
	ds_read2_b64 v[64:67], v197 offset1:34
	ds_read2_b64 v[20:23], v197 offset0:204 offset1:255
	ds_read2_b64 v[68:71], v48 offset0:33 offset1:67
	;; [unrolled: 1-line block ×6, first 2 shown]
	v_mov_b32_e32 v144, v216
	v_mov_b32_e32 v145, v216
	;; [unrolled: 1-line block ×21, first 2 shown]
	s_and_saveexec_b64 s[2:3], s[0:1]
	s_cbranch_execz .LBB0_19
; %bb.18:
	v_add_u32_e32 v44, 0x770, v197
	ds_read2_b64 v[44:47], v44 offset1:255
.LBB0_19:
	s_or_b64 exec, exec, s[2:3]
	s_waitcnt lgkmcnt(5)
	v_pk_mul_f32 v[78:79], v[216:217], v[22:23]
	s_waitcnt lgkmcnt(4)
	v_pk_mul_f32 v[80:81], v[84:85], v[68:69]
	;; [unrolled: 2-line block ×4, first 2 shown]
	v_pk_fma_f32 v[92:93], v[144:145], v[22:23], v[78:79] op_sel:[0,0,1] op_sel_hi:[1,1,0]
	v_pk_fma_f32 v[22:23], v[144:145], v[22:23], v[78:79] op_sel:[0,0,1] op_sel_hi:[1,1,0] neg_lo:[0,0,1] neg_hi:[0,0,1]
	s_nop 0
	v_mov_b32_e32 v93, v23
	v_pk_add_f32 v[22:23], v[64:65], v[92:93] neg_lo:[0,1] neg_hi:[0,1]
	s_barrier
	v_pk_fma_f32 v[64:65], v[64:65], 2.0, v[22:23] op_sel_hi:[1,0,1] neg_lo:[0,0,1] neg_hi:[0,0,1]
	ds_write2_b64 v204, v[64:65], v[22:23] offset1:17
	v_pk_fma_f32 v[22:23], v[140:141], v[68:69], v[80:81] op_sel:[0,0,1] op_sel_hi:[1,1,0]
	v_pk_fma_f32 v[64:65], v[140:141], v[68:69], v[80:81] op_sel:[0,0,1] op_sel_hi:[1,1,0] neg_lo:[0,0,1] neg_hi:[0,0,1]
	v_pk_mul_f32 v[82:83], v[86:87], v[70:71]
	v_mov_b32_e32 v23, v65
	v_pk_add_f32 v[22:23], v[66:67], v[22:23] neg_lo:[0,1] neg_hi:[0,1]
	v_pk_mul_f32 v[86:87], v[90:91], v[58:59]
	v_pk_fma_f32 v[64:65], v[66:67], 2.0, v[22:23] op_sel_hi:[1,0,1] neg_lo:[0,0,1] neg_hi:[0,0,1]
	ds_write2_b64 v206, v[64:65], v[22:23] offset1:17
	v_pk_fma_f32 v[22:23], v[138:139], v[70:71], v[82:83] op_sel:[0,0,1] op_sel_hi:[1,1,0]
	v_pk_fma_f32 v[64:65], v[138:139], v[70:71], v[82:83] op_sel:[0,0,1] op_sel_hi:[1,1,0] neg_lo:[0,0,1] neg_hi:[0,0,1]
	v_pk_mul_f32 v[90:91], v[94:95], v[50:51]
	v_mov_b32_e32 v23, v65
	v_pk_add_f32 v[22:23], v[60:61], v[22:23] neg_lo:[0,1] neg_hi:[0,1]
	v_mov_b32_e32 v130, v12
	v_pk_fma_f32 v[60:61], v[60:61], 2.0, v[22:23] op_sel_hi:[1,0,1] neg_lo:[0,0,1] neg_hi:[0,0,1]
	ds_write2_b64 v208, v[60:61], v[22:23] offset1:17
	v_pk_fma_f32 v[22:23], v[136:137], v[56:57], v[84:85] op_sel:[0,0,1] op_sel_hi:[1,1,0]
	v_pk_fma_f32 v[56:57], v[136:137], v[56:57], v[84:85] op_sel:[0,0,1] op_sel_hi:[1,1,0] neg_lo:[0,0,1] neg_hi:[0,0,1]
	v_mov_b32_e32 v131, v12
	v_mov_b32_e32 v23, v57
	v_pk_add_f32 v[22:23], v[62:63], v[22:23] neg_lo:[0,1] neg_hi:[0,1]
	v_mov_b32_e32 v12, v13
	v_pk_fma_f32 v[56:57], v[62:63], 2.0, v[22:23] op_sel_hi:[1,0,1] neg_lo:[0,0,1] neg_hi:[0,0,1]
	ds_write2_b64 v209, v[56:57], v[22:23] offset1:17
	v_pk_fma_f32 v[22:23], v[134:135], v[58:59], v[86:87] op_sel:[0,0,1] op_sel_hi:[1,1,0]
	v_pk_fma_f32 v[56:57], v[134:135], v[58:59], v[86:87] op_sel:[0,0,1] op_sel_hi:[1,1,0] neg_lo:[0,0,1] neg_hi:[0,0,1]
	v_mov_b32_e32 v128, v14
	;; [unrolled: 8-line block ×4, first 2 shown]
	v_mov_b32_e32 v23, v49
	v_pk_add_f32 v[22:23], v[20:21], v[22:23] neg_lo:[0,1] neg_hi:[0,1]
	v_mov_b32_e32 v8, v9
	v_mov_b32_e32 v124, v10
	;; [unrolled: 1-line block ×52, first 2 shown]
	v_add_u32_e32 v147, 0x110, v77
	v_add_u32_e32 v146, 0x220, v77
	v_pk_fma_f32 v[20:21], v[20:21], 2.0, v[22:23] op_sel_hi:[1,0,1] neg_lo:[0,0,1] neg_hi:[0,0,1]
	ds_write2_b64 v215, v[20:21], v[22:23] offset1:17
	s_and_saveexec_b64 s[2:3], s[0:1]
	s_cbranch_execz .LBB0_21
; %bb.20:
	v_pk_mul_f32 v[20:21], v[202:203], v[46:47] op_sel:[0,1]
	v_lshl_add_u32 v48, v201, 3, v199
	v_pk_fma_f32 v[22:23], v[202:203], v[46:47], v[20:21] op_sel:[0,0,1] op_sel_hi:[1,1,0]
	v_pk_fma_f32 v[20:21], v[202:203], v[46:47], v[20:21] op_sel:[0,0,1] op_sel_hi:[1,0,0] neg_lo:[1,0,0] neg_hi:[1,0,0]
	s_nop 0
	v_mov_b32_e32 v23, v21
	v_pk_add_f32 v[20:21], v[44:45], v[22:23] neg_lo:[0,1] neg_hi:[0,1]
	s_nop 0
	v_pk_fma_f32 v[22:23], v[44:45], 2.0, v[20:21] op_sel_hi:[1,0,1] neg_lo:[0,0,1] neg_hi:[0,0,1]
	v_add_u32_e32 v44, 0x800, v48
	ds_write2_b64 v44, v[22:23], v[20:21] offset0:220 offset1:237
.LBB0_21:
	s_or_b64 exec, exec, s[2:3]
	s_waitcnt lgkmcnt(0)
	s_barrier
	ds_read2_b64 v[20:23], v197 offset0:136 offset1:170
	ds_read2_b64 v[44:47], v197 offset1:34
	v_add_u32_e32 v68, 0x800, v197
	ds_read2_b64 v[48:51], v68 offset0:84 offset1:118
	s_mov_b32 s0, 0x3f5db3d7
	s_waitcnt lgkmcnt(2)
	v_pk_mul_f32 v[52:53], v[0:1], v[22:23]
	s_mov_b32 s2, 0x3f737871
	v_pk_fma_f32 v[54:55], v[118:119], v[22:23], v[52:53] op_sel:[0,0,1] op_sel_hi:[1,1,0]
	v_pk_fma_f32 v[22:23], v[118:119], v[22:23], v[52:53] op_sel:[0,0,1] op_sel_hi:[1,1,0] neg_lo:[0,0,1] neg_hi:[0,0,1]
	s_mov_b32 s10, 0x3f167918
	v_mov_b32_e32 v55, v23
	s_waitcnt lgkmcnt(0)
	v_pk_mul_f32 v[22:23], v[2:3], v[48:49]
	s_nop 0
	v_pk_fma_f32 v[52:53], v[116:117], v[48:49], v[22:23] op_sel:[0,0,1] op_sel_hi:[1,1,0]
	v_pk_fma_f32 v[22:23], v[116:117], v[48:49], v[22:23] op_sel:[0,0,1] op_sel_hi:[1,1,0] neg_lo:[0,0,1] neg_hi:[0,0,1]
	s_nop 0
	v_mov_b32_e32 v53, v23
	v_pk_add_f32 v[22:23], v[44:45], v[54:55]
	v_pk_add_f32 v[48:49], v[54:55], v[52:53]
	;; [unrolled: 1-line block ×3, first 2 shown]
	v_pk_fma_f32 v[44:45], v[48:49], 0.5, v[44:45] op_sel_hi:[1,0,1] neg_lo:[1,0,0] neg_hi:[1,0,0]
	v_pk_add_f32 v[48:49], v[54:55], v[52:53] neg_lo:[0,1] neg_hi:[0,1]
	ds_read2_b64 v[52:55], v68 offset0:16 offset1:50
	v_pk_mul_f32 v[48:49], v[48:49], s[0:1] op_sel_hi:[1,0]
	s_waitcnt lgkmcnt(0)
	v_pk_mul_f32 v[12:13], v[12:13], v[54:55]
	v_pk_add_f32 v[58:59], v[44:45], v[48:49] op_sel:[0,1] op_sel_hi:[1,0] neg_lo:[0,1] neg_hi:[0,1]
	v_pk_add_f32 v[44:45], v[44:45], v[48:49] op_sel:[0,1] op_sel_hi:[1,0]
	ds_read_b64 v[48:49], v197 offset:3808
	v_pk_fma_f32 v[60:61], v[130:131], v[54:55], v[12:13] op_sel:[0,0,1] op_sel_hi:[1,1,0]
	v_pk_fma_f32 v[12:13], v[130:131], v[54:55], v[12:13] op_sel:[0,0,1] op_sel_hi:[1,1,0] neg_lo:[0,0,1] neg_hi:[0,0,1]
	v_pk_mul_f32 v[8:9], v[8:9], v[52:53]
	v_mov_b32_e32 v61, v13
	s_waitcnt lgkmcnt(0)
	v_pk_mul_f32 v[12:13], v[14:15], v[48:49]
	v_pk_fma_f32 v[64:65], v[126:127], v[52:53], v[8:9] op_sel:[0,0,1] op_sel_hi:[1,1,0]
	v_pk_fma_f32 v[62:63], v[128:129], v[48:49], v[12:13] op_sel:[0,0,1] op_sel_hi:[1,1,0]
	v_pk_fma_f32 v[12:13], v[128:129], v[48:49], v[12:13] op_sel:[0,0,1] op_sel_hi:[1,1,0] neg_lo:[0,0,1] neg_hi:[0,0,1]
	v_pk_fma_f32 v[8:9], v[126:127], v[52:53], v[8:9] op_sel:[0,0,1] op_sel_hi:[1,1,0] neg_lo:[0,0,1] neg_hi:[0,0,1]
	v_mov_b32_e32 v63, v13
	v_pk_add_f32 v[12:13], v[20:21], v[60:61]
	v_mov_b32_e32 v65, v9
	v_pk_add_f32 v[48:49], v[12:13], v[62:63]
	ds_read2_b64 v[12:15], v197 offset0:68 offset1:102
	ds_read2_b64 v[54:57], v68 offset0:152 offset1:186
	s_waitcnt lgkmcnt(0)
	v_pk_mul_f32 v[52:53], v[10:11], v[56:57]
	ds_read2_b64 v[8:11], v197 offset0:204 offset1:238
	v_pk_fma_f32 v[66:67], v[124:125], v[56:57], v[52:53] op_sel:[0,0,1] op_sel_hi:[1,1,0]
	v_pk_fma_f32 v[52:53], v[124:125], v[56:57], v[52:53] op_sel:[0,0,1] op_sel_hi:[1,1,0] neg_lo:[0,0,1] neg_hi:[0,0,1]
	s_waitcnt lgkmcnt(0)
	s_barrier
	v_pk_mul_f32 v[4:5], v[4:5], v[10:11]
	v_pk_mul_f32 v[0:1], v[0:1], v[8:9]
	v_pk_fma_f32 v[56:57], v[122:123], v[10:11], v[4:5] op_sel:[0,0,1] op_sel_hi:[1,1,0]
	v_pk_fma_f32 v[4:5], v[122:123], v[10:11], v[4:5] op_sel:[0,0,1] op_sel_hi:[1,1,0] neg_lo:[0,0,1] neg_hi:[0,0,1]
	s_nop 0
	v_mov_b32_e32 v57, v5
	v_pk_mul_f32 v[4:5], v[6:7], v[54:55]
	v_mov_b32_e32 v67, v53
	v_pk_fma_f32 v[6:7], v[120:121], v[54:55], v[4:5] op_sel:[0,0,1] op_sel_hi:[1,1,0]
	v_pk_fma_f32 v[4:5], v[120:121], v[54:55], v[4:5] op_sel:[0,0,1] op_sel_hi:[1,1,0] neg_lo:[0,0,1] neg_hi:[0,0,1]
	v_pk_add_f32 v[52:53], v[14:15], v[64:65]
	v_mov_b32_e32 v7, v5
	v_pk_add_f32 v[4:5], v[56:57], v[6:7]
	v_pk_add_f32 v[10:11], v[56:57], v[6:7] neg_lo:[0,1] neg_hi:[0,1]
	v_pk_fma_f32 v[4:5], v[4:5], 0.5, v[12:13] op_sel_hi:[1,0,1] neg_lo:[1,0,0] neg_hi:[1,0,0]
	v_pk_mul_f32 v[10:11], v[10:11], s[0:1] op_sel_hi:[1,0]
	v_pk_add_f32 v[52:53], v[52:53], v[66:67]
	v_pk_add_f32 v[54:55], v[4:5], v[10:11] op_sel:[0,1] op_sel_hi:[1,0] neg_lo:[0,1] neg_hi:[0,1]
	v_pk_add_f32 v[4:5], v[4:5], v[10:11] op_sel:[0,1] op_sel_hi:[1,0]
	v_pk_fma_f32 v[10:11], v[118:119], v[8:9], v[0:1] op_sel:[0,0,1] op_sel_hi:[1,1,0]
	v_pk_fma_f32 v[0:1], v[118:119], v[8:9], v[0:1] op_sel:[0,0,1] op_sel_hi:[1,1,0] neg_lo:[0,0,1] neg_hi:[0,0,1]
	s_nop 0
	v_mov_b32_e32 v11, v1
	v_pk_mul_f32 v[0:1], v[2:3], v[50:51]
	s_nop 0
	v_pk_fma_f32 v[2:3], v[116:117], v[50:51], v[0:1] op_sel:[0,0,1] op_sel_hi:[1,1,0]
	v_pk_fma_f32 v[0:1], v[116:117], v[50:51], v[0:1] op_sel:[0,0,1] op_sel_hi:[1,1,0] neg_lo:[0,0,1] neg_hi:[0,0,1]
	s_nop 0
	v_mov_b32_e32 v3, v1
	v_pk_add_f32 v[0:1], v[10:11], v[2:3]
	v_pk_add_f32 v[8:9], v[10:11], v[2:3] neg_lo:[0,1] neg_hi:[0,1]
	v_pk_fma_f32 v[0:1], v[0:1], 0.5, v[46:47] op_sel_hi:[1,0,1] neg_lo:[1,0,0] neg_hi:[1,0,0]
	v_pk_mul_f32 v[8:9], v[8:9], s[0:1] op_sel_hi:[1,0]
	s_nop 0
	v_pk_add_f32 v[50:51], v[0:1], v[8:9] op_sel:[0,1] op_sel_hi:[1,0]
	v_pk_add_f32 v[0:1], v[0:1], v[8:9] op_sel:[0,1] op_sel_hi:[1,0] neg_lo:[0,1] neg_hi:[0,1]
	v_mov_b32_e32 v8, v58
	v_mov_b32_e32 v9, v45
	ds_write2_b64 v197, v[22:23], v[8:9] offset1:34
	v_pk_add_f32 v[8:9], v[46:47], v[10:11]
	v_mov_b32_e32 v45, v59
	v_pk_add_f32 v[2:3], v[8:9], v[2:3]
	ds_write2_b64 v197, v[44:45], v[2:3] offset0:68 offset1:102
	v_mov_b32_e32 v2, v0
	v_mov_b32_e32 v3, v51
	;; [unrolled: 1-line block ×3, first 2 shown]
	v_pk_add_f32 v[0:1], v[12:13], v[56:57]
	ds_write2_b64 v197, v[2:3], v[50:51] offset0:136 offset1:170
	v_pk_add_f32 v[0:1], v[0:1], v[6:7]
	v_mov_b32_e32 v2, v54
	v_mov_b32_e32 v3, v5
	ds_write2_b64 v213, v[0:1], v[2:3] offset0:204 offset1:238
	v_pk_add_f32 v[0:1], v[64:65], v[66:67]
	v_pk_add_f32 v[2:3], v[64:65], v[66:67] neg_lo:[0,1] neg_hi:[0,1]
	v_mov_b32_e32 v5, v55
	v_pk_fma_f32 v[0:1], v[0:1], 0.5, v[14:15] op_sel_hi:[1,0,1] neg_lo:[1,0,0] neg_hi:[1,0,0]
	v_pk_mul_f32 v[2:3], v[2:3], s[0:1] op_sel_hi:[1,0]
	ds_write_b64 v213, v[4:5] offset:2176
	v_pk_add_f32 v[4:5], v[0:1], v[2:3] op_sel:[0,1] op_sel_hi:[1,0] neg_lo:[0,1] neg_hi:[0,1]
	v_pk_add_f32 v[0:1], v[0:1], v[2:3] op_sel:[0,1] op_sel_hi:[1,0]
	v_mov_b32_e32 v2, v4
	v_mov_b32_e32 v3, v1
	v_add_u32_e32 v1, 0x800, v207
	ds_write2_b64 v1, v[52:53], v[2:3] offset0:50 offset1:84
	v_mov_b32_e32 v1, v5
	ds_write_b64 v207, v[0:1] offset:2992
	v_pk_add_f32 v[0:1], v[60:61], v[62:63]
	v_pk_add_f32 v[2:3], v[60:61], v[62:63] neg_lo:[0,1] neg_hi:[0,1]
	v_pk_fma_f32 v[0:1], v[0:1], 0.5, v[20:21] op_sel_hi:[1,0,1] neg_lo:[1,0,0] neg_hi:[1,0,0]
	v_pk_mul_f32 v[2:3], v[2:3], s[0:1] op_sel_hi:[1,0]
	s_mov_b32 s0, 0x3e9e377a
	v_pk_add_f32 v[4:5], v[0:1], v[2:3] op_sel:[0,1] op_sel_hi:[1,0] neg_lo:[0,1] neg_hi:[0,1]
	v_pk_add_f32 v[0:1], v[0:1], v[2:3] op_sel:[0,1] op_sel_hi:[1,0]
	v_mov_b32_e32 v2, v4
	v_mov_b32_e32 v3, v1
	v_add_u32_e32 v1, 0x800, v205
	ds_write2_b64 v1, v[48:49], v[2:3] offset0:152 offset1:186
	v_mov_b32_e32 v1, v5
	ds_write_b64 v205, v[0:1] offset:3808
	s_waitcnt lgkmcnt(0)
	s_barrier
	ds_read2_b64 v[0:3], v197 offset0:68 offset1:102
	ds_read2_b64 v[4:7], v197 offset1:34
	ds_read2_b64 v[8:11], v197 offset0:204 offset1:238
	ds_read2_b64 v[12:15], v68 offset0:16 offset1:50
	;; [unrolled: 1-line block ×3, first 2 shown]
	s_waitcnt lgkmcnt(4)
	v_pk_mul_f32 v[40:41], v[40:41], v[2:3]
	s_nop 0
	v_pk_fma_f32 v[44:45], v[114:115], v[2:3], v[40:41] op_sel:[0,0,1] op_sel_hi:[1,1,0]
	v_pk_fma_f32 v[2:3], v[114:115], v[2:3], v[40:41] op_sel:[0,0,1] op_sel_hi:[1,1,0] neg_lo:[0,0,1] neg_hi:[0,0,1]
	s_nop 0
	v_mov_b32_e32 v45, v3
	s_waitcnt lgkmcnt(2)
	v_pk_mul_f32 v[2:3], v[42:43], v[8:9]
	ds_read2_b64 v[40:43], v68 offset0:84 offset1:118
	v_pk_fma_f32 v[46:47], v[112:113], v[8:9], v[2:3] op_sel:[0,0,1] op_sel_hi:[1,1,0]
	v_pk_fma_f32 v[2:3], v[112:113], v[8:9], v[2:3] op_sel:[0,0,1] op_sel_hi:[1,1,0] neg_lo:[0,0,1] neg_hi:[0,0,1]
	s_nop 0
	v_mov_b32_e32 v47, v3
	s_waitcnt lgkmcnt(2)
	v_pk_mul_f32 v[2:3], v[36:37], v[14:15]
	s_nop 0
	v_pk_fma_f32 v[8:9], v[110:111], v[14:15], v[2:3] op_sel:[0,0,1] op_sel_hi:[1,1,0]
	v_pk_fma_f32 v[2:3], v[110:111], v[14:15], v[2:3] op_sel:[0,0,1] op_sel_hi:[1,1,0] neg_lo:[0,0,1] neg_hi:[0,0,1]
	s_nop 0
	v_mov_b32_e32 v9, v3
	s_waitcnt lgkmcnt(1)
	v_pk_mul_f32 v[2:3], v[38:39], v[20:21]
	ds_read2_b64 v[36:39], v197 offset0:136 offset1:170
	v_pk_fma_f32 v[14:15], v[108:109], v[20:21], v[2:3] op_sel:[0,0,1] op_sel_hi:[1,1,0]
	v_pk_fma_f32 v[2:3], v[108:109], v[20:21], v[2:3] op_sel:[0,0,1] op_sel_hi:[1,1,0] neg_lo:[0,0,1] neg_hi:[0,0,1]
	s_waitcnt lgkmcnt(0)
	v_pk_mul_f32 v[20:21], v[32:33], v[36:37]
	s_nop 0
	v_pk_fma_f32 v[32:33], v[106:107], v[36:37], v[20:21] op_sel:[0,0,1] op_sel_hi:[1,1,0]
	v_pk_fma_f32 v[20:21], v[106:107], v[36:37], v[20:21] op_sel:[0,0,1] op_sel_hi:[1,1,0] neg_lo:[0,0,1] neg_hi:[0,0,1]
	v_pk_mul_f32 v[24:25], v[24:25], v[38:39]
	v_mov_b32_e32 v33, v21
	v_pk_mul_f32 v[20:21], v[34:35], v[10:11]
	v_mov_b32_e32 v15, v3
	v_pk_fma_f32 v[34:35], v[104:105], v[10:11], v[20:21] op_sel:[0,0,1] op_sel_hi:[1,1,0]
	v_pk_fma_f32 v[10:11], v[104:105], v[10:11], v[20:21] op_sel:[0,0,1] op_sel_hi:[1,1,0] neg_lo:[0,0,1] neg_hi:[0,0,1]
	v_pk_add_f32 v[2:3], v[4:5], v[44:45]
	v_mov_b32_e32 v35, v11
	v_pk_mul_f32 v[10:11], v[28:29], v[40:41]
	v_pk_add_f32 v[2:3], v[2:3], v[46:47]
	v_pk_fma_f32 v[20:21], v[102:103], v[40:41], v[10:11] op_sel:[0,0,1] op_sel_hi:[1,1,0]
	v_pk_fma_f32 v[10:11], v[102:103], v[40:41], v[10:11] op_sel:[0,0,1] op_sel_hi:[1,1,0] neg_lo:[0,0,1] neg_hi:[0,0,1]
	v_pk_add_f32 v[2:3], v[2:3], v[8:9]
	v_mov_b32_e32 v21, v11
	v_pk_mul_f32 v[10:11], v[30:31], v[22:23]
	v_pk_fma_f32 v[30:31], v[98:99], v[38:39], v[24:25] op_sel:[0,0,1] op_sel_hi:[1,1,0]
	v_pk_fma_f32 v[28:29], v[100:101], v[22:23], v[10:11] op_sel:[0,0,1] op_sel_hi:[1,1,0]
	v_pk_fma_f32 v[10:11], v[100:101], v[22:23], v[10:11] op_sel:[0,0,1] op_sel_hi:[1,1,0] neg_lo:[0,0,1] neg_hi:[0,0,1]
	ds_read_b64 v[22:23], v197 offset:3808
	v_pk_fma_f32 v[24:25], v[98:99], v[38:39], v[24:25] op_sel:[0,0,1] op_sel_hi:[1,1,0] neg_lo:[0,0,1] neg_hi:[0,0,1]
	v_pk_add_f32 v[2:3], v[2:3], v[14:15]
	v_mov_b32_e32 v31, v25
	v_pk_mul_f32 v[24:25], v[26:27], v[12:13]
	ds_write_b64 v77, v[2:3]
	v_pk_fma_f32 v[26:27], v[96:97], v[12:13], v[24:25] op_sel:[0,0,1] op_sel_hi:[1,1,0]
	v_pk_fma_f32 v[12:13], v[96:97], v[12:13], v[24:25] op_sel:[0,0,1] op_sel_hi:[1,1,0] neg_lo:[0,0,1] neg_hi:[0,0,1]
	v_pk_add_f32 v[2:3], v[46:47], v[8:9]
	v_mov_b32_e32 v27, v13
	v_pk_mul_f32 v[12:13], v[16:17], v[42:43]
	v_pk_fma_f32 v[2:3], v[2:3], 0.5, v[4:5] op_sel_hi:[1,0,1] neg_lo:[1,0,0] neg_hi:[1,0,0]
	v_pk_fma_f32 v[16:17], v[74:75], v[42:43], v[12:13] op_sel:[0,0,1] op_sel_hi:[1,1,0]
	v_pk_fma_f32 v[12:13], v[74:75], v[42:43], v[12:13] op_sel:[0,0,1] op_sel_hi:[1,1,0] neg_lo:[0,0,1] neg_hi:[0,0,1]
	v_pk_add_f32 v[36:37], v[46:47], v[8:9] neg_lo:[0,1] neg_hi:[0,1]
	v_mov_b32_e32 v17, v13
	s_waitcnt lgkmcnt(1)
	v_pk_mul_f32 v[12:13], v[18:19], v[22:23]
	v_pk_add_f32 v[40:41], v[44:45], v[46:47] neg_lo:[0,1] neg_hi:[0,1]
	v_pk_fma_f32 v[18:19], v[72:73], v[22:23], v[12:13] op_sel:[0,0,1] op_sel_hi:[1,1,0]
	v_pk_fma_f32 v[12:13], v[72:73], v[22:23], v[12:13] op_sel:[0,0,1] op_sel_hi:[1,1,0] neg_lo:[0,0,1] neg_hi:[0,0,1]
	v_pk_add_f32 v[22:23], v[44:45], v[14:15] neg_lo:[0,1] neg_hi:[0,1]
	v_pk_add_f32 v[42:43], v[14:15], v[8:9] neg_lo:[0,1] neg_hi:[0,1]
	v_pk_mul_f32 v[24:25], v[22:23], s[2:3] op_sel_hi:[1,0]
	v_pk_mul_f32 v[38:39], v[36:37], s[10:11] op_sel_hi:[1,0]
	v_pk_add_f32 v[40:41], v[40:41], v[42:43]
	v_pk_add_f32 v[42:43], v[2:3], v[24:25] op_sel:[0,1] op_sel_hi:[1,0] neg_lo:[0,1] neg_hi:[0,1]
	v_pk_add_f32 v[2:3], v[2:3], v[24:25] op_sel:[0,1] op_sel_hi:[1,0]
	v_pk_add_f32 v[24:25], v[42:43], v[38:39] op_sel:[0,1] op_sel_hi:[1,0] neg_lo:[0,1] neg_hi:[0,1]
	v_pk_add_f32 v[42:43], v[44:45], v[14:15]
	v_pk_add_f32 v[8:9], v[8:9], v[14:15] neg_lo:[0,1] neg_hi:[0,1]
	v_pk_fma_f32 v[4:5], v[42:43], 0.5, v[4:5] op_sel_hi:[1,0,1] neg_lo:[1,0,0] neg_hi:[1,0,0]
	v_pk_mul_f32 v[14:15], v[36:37], s[2:3] op_sel_hi:[1,0]
	v_pk_mul_f32 v[22:23], v[22:23], s[10:11] op_sel_hi:[1,0]
	v_pk_add_f32 v[36:37], v[4:5], v[14:15] op_sel:[0,1] op_sel_hi:[1,0]
	v_pk_add_f32 v[4:5], v[4:5], v[14:15] op_sel:[0,1] op_sel_hi:[1,0] neg_lo:[0,1] neg_hi:[0,1]
	v_pk_add_f32 v[2:3], v[2:3], v[38:39] op_sel:[0,1] op_sel_hi:[1,0]
	v_pk_add_f32 v[42:43], v[46:47], v[44:45] neg_lo:[0,1] neg_hi:[0,1]
	v_pk_add_f32 v[4:5], v[4:5], v[22:23] op_sel:[0,1] op_sel_hi:[1,0]
	v_pk_add_f32 v[14:15], v[36:37], v[22:23] op_sel:[0,1] op_sel_hi:[1,0] neg_lo:[0,1] neg_hi:[0,1]
	v_mov_b32_e32 v39, v3
	v_pk_add_f32 v[8:9], v[42:43], v[8:9]
	v_mov_b32_e32 v22, v14
	v_mov_b32_e32 v23, v5
	v_mov_b32_e32 v5, v15
	v_mov_b32_e32 v3, v25
	v_mov_b32_e32 v29, v11
	v_mov_b32_e32 v38, v24
	v_pk_fma_f32 v[22:23], v[8:9], s[0:1], v[22:23] op_sel_hi:[1,0,1]
	v_pk_fma_f32 v[4:5], v[8:9], s[0:1], v[4:5] op_sel_hi:[1,0,1]
	;; [unrolled: 1-line block ×3, first 2 shown]
	v_add_u32_e32 v2, 0x800, v77
	v_pk_fma_f32 v[38:39], v[40:41], s[0:1], v[38:39] op_sel_hi:[1,0,1]
	ds_write2_b64 v2, v[4:5], v[8:9] offset0:50 offset1:152
	v_pk_add_f32 v[4:5], v[34:35], v[20:21]
	v_pk_add_f32 v[8:9], v[32:33], v[28:29] neg_lo:[0,1] neg_hi:[0,1]
	ds_write2_b64 v77, v[38:39], v[22:23] offset0:102 offset1:204
	v_pk_fma_f32 v[4:5], v[4:5], 0.5, v[6:7] op_sel_hi:[1,0,1] neg_lo:[1,0,0] neg_hi:[1,0,0]
	v_pk_mul_f32 v[14:15], v[8:9], s[2:3] op_sel_hi:[1,0]
	v_pk_add_f32 v[22:23], v[34:35], v[20:21] neg_lo:[0,1] neg_hi:[0,1]
	v_pk_add_f32 v[36:37], v[32:33], v[34:35] neg_lo:[0,1] neg_hi:[0,1]
	;; [unrolled: 1-line block ×3, first 2 shown]
	v_pk_add_f32 v[10:11], v[6:7], v[32:33]
	v_pk_mul_f32 v[24:25], v[22:23], s[10:11] op_sel_hi:[1,0]
	v_pk_add_f32 v[36:37], v[36:37], v[38:39]
	v_pk_add_f32 v[38:39], v[4:5], v[14:15] op_sel:[0,1] op_sel_hi:[1,0] neg_lo:[0,1] neg_hi:[0,1]
	v_pk_add_f32 v[10:11], v[10:11], v[34:35]
	v_pk_add_f32 v[4:5], v[4:5], v[14:15] op_sel:[0,1] op_sel_hi:[1,0]
	v_pk_add_f32 v[14:15], v[38:39], v[24:25] op_sel:[0,1] op_sel_hi:[1,0] neg_lo:[0,1] neg_hi:[0,1]
	v_pk_add_f32 v[38:39], v[32:33], v[28:29]
	v_pk_add_f32 v[10:11], v[10:11], v[20:21]
	v_pk_fma_f32 v[6:7], v[38:39], 0.5, v[6:7] op_sel_hi:[1,0,1] neg_lo:[1,0,0] neg_hi:[1,0,0]
	v_pk_mul_f32 v[22:23], v[22:23], s[2:3] op_sel_hi:[1,0]
	v_pk_add_f32 v[10:11], v[10:11], v[28:29]
	v_pk_add_f32 v[20:21], v[20:21], v[28:29] neg_lo:[0,1] neg_hi:[0,1]
	v_pk_mul_f32 v[8:9], v[8:9], s[10:11] op_sel_hi:[1,0]
	v_pk_add_f32 v[28:29], v[6:7], v[22:23] op_sel:[0,1] op_sel_hi:[1,0]
	v_pk_add_f32 v[6:7], v[6:7], v[22:23] op_sel:[0,1] op_sel_hi:[1,0] neg_lo:[0,1] neg_hi:[0,1]
	v_mov_b32_e32 v19, v13
	v_pk_add_f32 v[12:13], v[0:1], v[30:31]
	v_pk_add_f32 v[4:5], v[4:5], v[24:25] op_sel:[0,1] op_sel_hi:[1,0]
	v_pk_add_f32 v[32:33], v[34:35], v[32:33] neg_lo:[0,1] neg_hi:[0,1]
	v_pk_add_f32 v[6:7], v[6:7], v[8:9] op_sel:[0,1] op_sel_hi:[1,0]
	v_pk_add_f32 v[8:9], v[28:29], v[8:9] op_sel:[0,1] op_sel_hi:[1,0] neg_lo:[0,1] neg_hi:[0,1]
	v_pk_add_f32 v[12:13], v[12:13], v[26:27]
	v_mov_b32_e32 v24, v14
	v_mov_b32_e32 v25, v5
	v_pk_add_f32 v[20:21], v[32:33], v[20:21]
	v_mov_b32_e32 v22, v8
	v_mov_b32_e32 v23, v7
	;; [unrolled: 1-line block ×4, first 2 shown]
	v_pk_add_f32 v[12:13], v[12:13], v[16:17]
	v_pk_fma_f32 v[24:25], v[36:37], s[0:1], v[24:25] op_sel_hi:[1,0,1]
	v_pk_fma_f32 v[22:23], v[20:21], s[0:1], v[22:23] op_sel_hi:[1,0,1]
	;; [unrolled: 1-line block ×4, first 2 shown]
	v_add_u32_e32 v3, 0x800, v147
	v_pk_add_f32 v[12:13], v[12:13], v[18:19]
	ds_write2_b64 v147, v[24:25], v[22:23] offset0:102 offset1:204
	ds_write2_b64 v3, v[6:7], v[4:5] offset0:50 offset1:152
	;; [unrolled: 1-line block ×3, first 2 shown]
	v_pk_add_f32 v[4:5], v[26:27], v[16:17]
	v_pk_add_f32 v[6:7], v[30:31], v[18:19] neg_lo:[0,1] neg_hi:[0,1]
	v_pk_fma_f32 v[4:5], v[4:5], 0.5, v[0:1] op_sel_hi:[1,0,1] neg_lo:[1,0,0] neg_hi:[1,0,0]
	v_pk_mul_f32 v[8:9], v[6:7], s[2:3] op_sel_hi:[1,0]
	v_pk_add_f32 v[10:11], v[26:27], v[16:17] neg_lo:[0,1] neg_hi:[0,1]
	v_pk_add_f32 v[14:15], v[30:31], v[26:27] neg_lo:[0,1] neg_hi:[0,1]
	v_pk_add_f32 v[20:21], v[18:19], v[16:17] neg_lo:[0,1] neg_hi:[0,1]
	v_pk_mul_f32 v[12:13], v[10:11], s[10:11] op_sel_hi:[1,0]
	v_pk_add_f32 v[14:15], v[14:15], v[20:21]
	v_pk_add_f32 v[20:21], v[4:5], v[8:9] op_sel:[0,1] op_sel_hi:[1,0] neg_lo:[0,1] neg_hi:[0,1]
	v_pk_add_f32 v[4:5], v[4:5], v[8:9] op_sel:[0,1] op_sel_hi:[1,0]
	v_pk_add_f32 v[8:9], v[20:21], v[12:13] op_sel:[0,1] op_sel_hi:[1,0] neg_lo:[0,1] neg_hi:[0,1]
	v_pk_add_f32 v[20:21], v[30:31], v[18:19]
	v_pk_mul_f32 v[10:11], v[10:11], s[2:3] op_sel_hi:[1,0]
	v_pk_fma_f32 v[0:1], v[20:21], 0.5, v[0:1] op_sel_hi:[1,0,1] neg_lo:[1,0,0] neg_hi:[1,0,0]
	v_pk_add_f32 v[16:17], v[16:17], v[18:19] neg_lo:[0,1] neg_hi:[0,1]
	v_pk_mul_f32 v[6:7], v[6:7], s[10:11] op_sel_hi:[1,0]
	v_pk_add_f32 v[18:19], v[0:1], v[10:11] op_sel:[0,1] op_sel_hi:[1,0]
	v_pk_add_f32 v[0:1], v[0:1], v[10:11] op_sel:[0,1] op_sel_hi:[1,0] neg_lo:[0,1] neg_hi:[0,1]
	v_pk_add_f32 v[4:5], v[4:5], v[12:13] op_sel:[0,1] op_sel_hi:[1,0]
	v_pk_add_f32 v[20:21], v[26:27], v[30:31] neg_lo:[0,1] neg_hi:[0,1]
	v_pk_add_f32 v[0:1], v[0:1], v[6:7] op_sel:[0,1] op_sel_hi:[1,0]
	v_pk_add_f32 v[6:7], v[18:19], v[6:7] op_sel:[0,1] op_sel_hi:[1,0] neg_lo:[0,1] neg_hi:[0,1]
	v_mov_b32_e32 v12, v8
	v_mov_b32_e32 v13, v5
	v_pk_add_f32 v[16:17], v[20:21], v[16:17]
	v_mov_b32_e32 v10, v6
	v_mov_b32_e32 v11, v1
	;; [unrolled: 1-line block ×4, first 2 shown]
	v_pk_fma_f32 v[12:13], v[14:15], s[0:1], v[12:13] op_sel_hi:[1,0,1]
	v_pk_fma_f32 v[10:11], v[16:17], s[0:1], v[10:11] op_sel_hi:[1,0,1]
	v_pk_fma_f32 v[0:1], v[16:17], s[0:1], v[0:1] op_sel_hi:[1,0,1]
	v_pk_fma_f32 v[4:5], v[14:15], s[0:1], v[4:5] op_sel_hi:[1,0,1]
	v_add_u32_e32 v3, 0x800, v146
	ds_write2_b64 v146, v[12:13], v[10:11] offset0:102 offset1:204
	ds_write2_b64 v3, v[0:1], v[4:5] offset0:50 offset1:152
	s_waitcnt lgkmcnt(0)
	s_barrier
	s_and_b64 exec, exec, vcc
	s_cbranch_execz .LBB0_23
; %bb.22:
	global_load_dwordx2 v[4:5], v196, s[8:9]
	ds_read_b64 v[8:9], v77
	v_mad_u64_u32 v[6:7], s[0:1], s6, v200, 0
	v_mov_b32_e32 v12, v7
	v_mad_u64_u32 v[12:13], s[2:3], s7, v200, v[12:13]
	v_mov_b32_e32 v0, s12
	v_mov_b32_e32 v1, s13
	v_mad_u64_u32 v[10:11], s[2:3], s4, v76, 0
	v_mov_b32_e32 v7, v12
	s_mov_b32 s0, 0x10101010
	v_mov_b32_e32 v14, v11
	v_lshl_add_u64 v[0:1], v[6:7], 3, v[0:1]
	s_mov_b32 s1, 0x3f601010
	v_mad_u64_u32 v[14:15], s[2:3], s5, v76, v[14:15]
	v_mov_b32_e32 v11, v14
	v_lshl_add_u64 v[10:11], v[10:11], 3, v[0:1]
	v_mov_b32_e32 v12, 0xf0
	s_mul_i32 s2, s5, 0xf0
	s_waitcnt vmcnt(0) lgkmcnt(0)
	v_mul_f32_e32 v3, v9, v5
	v_mul_f32_e32 v5, v8, v5
	v_fmac_f32_e32 v3, v8, v4
	v_fma_f32 v6, v4, v9, -v5
	v_cvt_f64_f32_e32 v[4:5], v3
	v_cvt_f64_f32_e32 v[6:7], v6
	v_mul_f64 v[4:5], v[4:5], s[0:1]
	v_mul_f64 v[6:7], v[6:7], s[0:1]
	v_cvt_f32_f64_e32 v4, v[4:5]
	v_cvt_f32_f64_e32 v5, v[6:7]
	global_store_dwordx2 v[10:11], v[4:5], off
	global_load_dwordx2 v[8:9], v196, s[8:9] offset:240
	ds_read2_b64 v[4:7], v77 offset0:30 offset1:60
	v_mad_u64_u32 v[10:11], s[6:7], s4, v12, v[10:11]
	v_add_u32_e32 v11, s2, v11
	s_waitcnt vmcnt(0) lgkmcnt(0)
	v_mul_f32_e32 v3, v5, v9
	v_mul_f32_e32 v9, v4, v9
	v_fmac_f32_e32 v3, v4, v8
	v_fma_f32 v8, v8, v5, -v9
	v_cvt_f64_f32_e32 v[4:5], v3
	v_cvt_f64_f32_e32 v[8:9], v8
	v_mul_f64 v[4:5], v[4:5], s[0:1]
	v_mul_f64 v[8:9], v[8:9], s[0:1]
	v_cvt_f32_f64_e32 v4, v[4:5]
	v_cvt_f32_f64_e32 v5, v[8:9]
	global_store_dwordx2 v[10:11], v[4:5], off
	global_load_dwordx2 v[4:5], v196, s[8:9] offset:480
	v_mad_u64_u32 v[8:9], s[6:7], s4, v12, v[10:11]
	v_add_u32_e32 v9, s2, v9
	s_waitcnt vmcnt(0)
	v_mul_f32_e32 v3, v7, v5
	v_mul_f32_e32 v5, v6, v5
	v_fmac_f32_e32 v3, v6, v4
	v_fma_f32 v6, v4, v7, -v5
	v_cvt_f64_f32_e32 v[4:5], v3
	v_cvt_f64_f32_e32 v[6:7], v6
	v_mul_f64 v[4:5], v[4:5], s[0:1]
	v_mul_f64 v[6:7], v[6:7], s[0:1]
	v_cvt_f32_f64_e32 v4, v[4:5]
	v_cvt_f32_f64_e32 v5, v[6:7]
	global_store_dwordx2 v[8:9], v[4:5], off
	global_load_dwordx2 v[10:11], v196, s[8:9] offset:720
	ds_read2_b64 v[4:7], v77 offset0:90 offset1:120
	v_mad_u64_u32 v[8:9], s[6:7], s4, v12, v[8:9]
	v_add_u32_e32 v9, s2, v9
	s_waitcnt vmcnt(0) lgkmcnt(0)
	v_mul_f32_e32 v3, v5, v11
	v_mul_f32_e32 v11, v4, v11
	v_fmac_f32_e32 v3, v4, v10
	v_fma_f32 v10, v10, v5, -v11
	v_cvt_f64_f32_e32 v[4:5], v3
	v_cvt_f64_f32_e32 v[10:11], v10
	v_mul_f64 v[4:5], v[4:5], s[0:1]
	v_mul_f64 v[10:11], v[10:11], s[0:1]
	v_cvt_f32_f64_e32 v4, v[4:5]
	v_cvt_f32_f64_e32 v5, v[10:11]
	global_store_dwordx2 v[8:9], v[4:5], off
	global_load_dwordx2 v[4:5], v196, s[8:9] offset:960
	v_mad_u64_u32 v[8:9], s[6:7], s4, v12, v[8:9]
	v_add_u32_e32 v9, s2, v9
	s_waitcnt vmcnt(0)
	;; [unrolled: 31-line block ×7, first 2 shown]
	v_mul_f32_e32 v3, v7, v5
	v_mul_f32_e32 v5, v6, v5
	v_fmac_f32_e32 v3, v6, v4
	v_fma_f32 v6, v4, v7, -v5
	v_cvt_f64_f32_e32 v[4:5], v3
	v_cvt_f64_f32_e32 v[6:7], v6
	v_mul_f64 v[4:5], v[4:5], s[0:1]
	v_mul_f64 v[6:7], v[6:7], s[0:1]
	v_cvt_f32_f64_e32 v4, v[4:5]
	v_cvt_f32_f64_e32 v5, v[6:7]
	global_store_dwordx2 v[8:9], v[4:5], off
	global_load_dwordx2 v[6:7], v196, s[8:9] offset:3600
	ds_read2_b64 v[2:5], v2 offset0:194 offset1:224
	v_mad_u64_u32 v[8:9], s[6:7], s4, v12, v[8:9]
	v_add_u32_e32 v9, s2, v9
	s_waitcnt vmcnt(0) lgkmcnt(0)
	v_mul_f32_e32 v10, v3, v7
	v_mul_f32_e32 v7, v2, v7
	v_fmac_f32_e32 v10, v2, v6
	v_fma_f32 v6, v6, v3, -v7
	v_cvt_f64_f32_e32 v[2:3], v10
	v_cvt_f64_f32_e32 v[6:7], v6
	v_mul_f64 v[2:3], v[2:3], s[0:1]
	v_mul_f64 v[6:7], v[6:7], s[0:1]
	v_cvt_f32_f64_e32 v2, v[2:3]
	v_cvt_f32_f64_e32 v3, v[6:7]
	global_store_dwordx2 v[8:9], v[2:3], off
	global_load_dwordx2 v[2:3], v196, s[8:9] offset:3840
	v_or_b32_e32 v9, 0x1e0, v76
	v_mad_u64_u32 v[6:7], s[2:3], s4, v9, 0
	v_mov_b32_e32 v8, v7
	v_mad_u64_u32 v[8:9], s[2:3], s5, v9, v[8:9]
	v_mov_b32_e32 v7, v8
	v_lshl_add_u64 v[0:1], v[6:7], 3, v[0:1]
	s_waitcnt vmcnt(0)
	v_mul_f32_e32 v8, v5, v3
	v_mul_f32_e32 v3, v4, v3
	v_fmac_f32_e32 v8, v4, v2
	v_fma_f32 v4, v2, v5, -v3
	v_cvt_f64_f32_e32 v[2:3], v8
	v_cvt_f64_f32_e32 v[4:5], v4
	v_mul_f64 v[2:3], v[2:3], s[0:1]
	v_mul_f64 v[4:5], v[4:5], s[0:1]
	v_cvt_f32_f64_e32 v2, v[2:3]
	v_cvt_f32_f64_e32 v3, v[4:5]
	global_store_dwordx2 v[0:1], v[2:3], off
.LBB0_23:
	s_endpgm
	.section	.rodata,"a",@progbits
	.p2align	6, 0x0
	.amdhsa_kernel bluestein_single_back_len510_dim1_sp_op_CI_CI
		.amdhsa_group_segment_fixed_size 28560
		.amdhsa_private_segment_fixed_size 0
		.amdhsa_kernarg_size 104
		.amdhsa_user_sgpr_count 2
		.amdhsa_user_sgpr_dispatch_ptr 0
		.amdhsa_user_sgpr_queue_ptr 0
		.amdhsa_user_sgpr_kernarg_segment_ptr 1
		.amdhsa_user_sgpr_dispatch_id 0
		.amdhsa_user_sgpr_kernarg_preload_length 0
		.amdhsa_user_sgpr_kernarg_preload_offset 0
		.amdhsa_user_sgpr_private_segment_size 0
		.amdhsa_uses_dynamic_stack 0
		.amdhsa_enable_private_segment 0
		.amdhsa_system_sgpr_workgroup_id_x 1
		.amdhsa_system_sgpr_workgroup_id_y 0
		.amdhsa_system_sgpr_workgroup_id_z 0
		.amdhsa_system_sgpr_workgroup_info 0
		.amdhsa_system_vgpr_workitem_id 0
		.amdhsa_next_free_vgpr 284
		.amdhsa_next_free_sgpr 74
		.amdhsa_accum_offset 256
		.amdhsa_reserve_vcc 1
		.amdhsa_float_round_mode_32 0
		.amdhsa_float_round_mode_16_64 0
		.amdhsa_float_denorm_mode_32 3
		.amdhsa_float_denorm_mode_16_64 3
		.amdhsa_dx10_clamp 1
		.amdhsa_ieee_mode 1
		.amdhsa_fp16_overflow 0
		.amdhsa_tg_split 0
		.amdhsa_exception_fp_ieee_invalid_op 0
		.amdhsa_exception_fp_denorm_src 0
		.amdhsa_exception_fp_ieee_div_zero 0
		.amdhsa_exception_fp_ieee_overflow 0
		.amdhsa_exception_fp_ieee_underflow 0
		.amdhsa_exception_fp_ieee_inexact 0
		.amdhsa_exception_int_div_zero 0
	.end_amdhsa_kernel
	.text
.Lfunc_end0:
	.size	bluestein_single_back_len510_dim1_sp_op_CI_CI, .Lfunc_end0-bluestein_single_back_len510_dim1_sp_op_CI_CI
                                        ; -- End function
	.section	.AMDGPU.csdata,"",@progbits
; Kernel info:
; codeLenInByte = 19620
; NumSgprs: 80
; NumVgprs: 256
; NumAgprs: 28
; TotalNumVgprs: 284
; ScratchSize: 0
; MemoryBound: 0
; FloatMode: 240
; IeeeMode: 1
; LDSByteSize: 28560 bytes/workgroup (compile time only)
; SGPRBlocks: 9
; VGPRBlocks: 35
; NumSGPRsForWavesPerEU: 80
; NumVGPRsForWavesPerEU: 284
; AccumOffset: 256
; Occupancy: 1
; WaveLimiterHint : 1
; COMPUTE_PGM_RSRC2:SCRATCH_EN: 0
; COMPUTE_PGM_RSRC2:USER_SGPR: 2
; COMPUTE_PGM_RSRC2:TRAP_HANDLER: 0
; COMPUTE_PGM_RSRC2:TGID_X_EN: 1
; COMPUTE_PGM_RSRC2:TGID_Y_EN: 0
; COMPUTE_PGM_RSRC2:TGID_Z_EN: 0
; COMPUTE_PGM_RSRC2:TIDIG_COMP_CNT: 0
; COMPUTE_PGM_RSRC3_GFX90A:ACCUM_OFFSET: 63
; COMPUTE_PGM_RSRC3_GFX90A:TG_SPLIT: 0
	.text
	.p2alignl 6, 3212836864
	.fill 256, 4, 3212836864
	.type	__hip_cuid_775e67011c965fc3,@object ; @__hip_cuid_775e67011c965fc3
	.section	.bss,"aw",@nobits
	.globl	__hip_cuid_775e67011c965fc3
__hip_cuid_775e67011c965fc3:
	.byte	0                               ; 0x0
	.size	__hip_cuid_775e67011c965fc3, 1

	.ident	"AMD clang version 19.0.0git (https://github.com/RadeonOpenCompute/llvm-project roc-6.4.0 25133 c7fe45cf4b819c5991fe208aaa96edf142730f1d)"
	.section	".note.GNU-stack","",@progbits
	.addrsig
	.addrsig_sym __hip_cuid_775e67011c965fc3
	.amdgpu_metadata
---
amdhsa.kernels:
  - .agpr_count:     28
    .args:
      - .actual_access:  read_only
        .address_space:  global
        .offset:         0
        .size:           8
        .value_kind:     global_buffer
      - .actual_access:  read_only
        .address_space:  global
        .offset:         8
        .size:           8
        .value_kind:     global_buffer
      - .actual_access:  read_only
        .address_space:  global
        .offset:         16
        .size:           8
        .value_kind:     global_buffer
      - .actual_access:  read_only
        .address_space:  global
        .offset:         24
        .size:           8
        .value_kind:     global_buffer
      - .actual_access:  read_only
        .address_space:  global
        .offset:         32
        .size:           8
        .value_kind:     global_buffer
      - .offset:         40
        .size:           8
        .value_kind:     by_value
      - .address_space:  global
        .offset:         48
        .size:           8
        .value_kind:     global_buffer
      - .address_space:  global
        .offset:         56
        .size:           8
        .value_kind:     global_buffer
      - .address_space:  global
        .offset:         64
        .size:           8
        .value_kind:     global_buffer
      - .address_space:  global
        .offset:         72
        .size:           8
        .value_kind:     global_buffer
      - .offset:         80
        .size:           4
        .value_kind:     by_value
      - .address_space:  global
        .offset:         88
        .size:           8
        .value_kind:     global_buffer
      - .address_space:  global
        .offset:         96
        .size:           8
        .value_kind:     global_buffer
    .group_segment_fixed_size: 28560
    .kernarg_segment_align: 8
    .kernarg_segment_size: 104
    .language:       OpenCL C
    .language_version:
      - 2
      - 0
    .max_flat_workgroup_size: 238
    .name:           bluestein_single_back_len510_dim1_sp_op_CI_CI
    .private_segment_fixed_size: 0
    .sgpr_count:     80
    .sgpr_spill_count: 0
    .symbol:         bluestein_single_back_len510_dim1_sp_op_CI_CI.kd
    .uniform_work_group_size: 1
    .uses_dynamic_stack: false
    .vgpr_count:     284
    .vgpr_spill_count: 0
    .wavefront_size: 64
amdhsa.target:   amdgcn-amd-amdhsa--gfx950
amdhsa.version:
  - 1
  - 2
...

	.end_amdgpu_metadata
